;; amdgpu-corpus repo=ROCm/aiter kind=harvested arch=n/a opt=n/a

/root/src/amdgpu-assembly/repos/ROCm__aiter/hsa/gfx942/fmoe_2stages/fmoe_stage1_bf16_pertokenFp8_blockscale_g1u1_16x128_4tg_pf3.co:	file format elf64-amdgpu

Disassembly of section .text:

0000000000002a00 <_ZN5aiter59fmoe_stage1_bf16_pertokenFp8_blockscale_g1u1_16x128_4tg_pf3E>:
	s_and_b32 s1, s1, 0xffff                                   // 000000002A00: 8601FF01 0000FFFF
	s_load_dwordx2 s[8:9], s[0:1], 0x0                         // 000000002A08: C0060200 00000000
	s_load_dwordx2 s[20:21], s[0:1], 0x10                      // 000000002A10: C0060500 00000010
	s_load_dwordx2 s[24:25], s[0:1], 0x20                      // 000000002A18: C0060600 00000020
	s_load_dwordx2 s[48:49], s[0:1], 0x30                      // 000000002A20: C0060C00 00000030
	s_load_dwordx2 s[28:29], s[0:1], 0x40                      // 000000002A28: C0060700 00000040
	s_load_dwordx2 s[32:33], s[0:1], 0x50                      // 000000002A30: C0060800 00000050
	s_load_dwordx2 s[36:37], s[0:1], 0x60                      // 000000002A38: C0060900 00000060
	s_load_dwordx2 s[12:13], s[0:1], 0x70                      // 000000002A40: C0060300 00000070
	s_load_dwordx2 s[44:45], s[0:1], 0x80                      // 000000002A48: C0060B00 00000080
	s_mov_b32 s89, 0                                           // 000000002A50: BED90080
	s_load_dword s64, s[0:1], 0x90                             // 000000002A54: C0021000 00000090
	s_load_dword s65, s[0:1], 0xa0                             // 000000002A5C: C0021040 000000A0
	s_load_dword s66, s[0:1], 0xb0                             // 000000002A64: C0021080 000000B0
	s_load_dword s67, s[0:1], 0xc0                             // 000000002A6C: C00210C0 000000C0
	s_load_dword s68, s[0:1], 0xd0                             // 000000002A74: C0021100 000000D0
	s_load_dword s69, s[0:1], 0xe0                             // 000000002A7C: C0021140 000000E0
	s_load_dword s71, s[0:1], 0xf0                             // 000000002A84: C00211C0 000000F0
	s_load_dword s72, s[0:1], 0x100                            // 000000002A8C: C0021200 00000100
	s_load_dword s74, s[0:1], 0x110                            // 000000002A94: C0021280 00000110
	s_load_dword s76, s[0:1], 0x120                            // 000000002A9C: C0021300 00000120
	s_load_dword s56, s[0:1], 0x130                            // 000000002AA4: C0020E00 00000130
	s_load_dword s88, s[0:1], 0x140                            // 000000002AAC: C0021600 00000140
	s_load_dword s89, s[0:1], 0x150                            // 000000002AB4: C0021640 00000150
	v_lshrrev_b32_e32 v1, 10, v0                               // 000000002ABC: 2002008A
	v_lshrrev_b32_e32 v2, 10, v1                               // 000000002AC0: 2004028A
	v_and_b32_e32 v2, 0x3ff, v2                                // 000000002AC4: 260404FF 000003FF
	v_and_b32_e32 v1, 0x3ff, v1                                // 000000002ACC: 260202FF 000003FF
	v_and_b32_e32 v0, 0x3ff, v0                                // 000000002AD4: 260000FF 000003FF
	v_lshrrev_b32_e32 v3, 6, v0                                // 000000002ADC: 20060086
	v_and_b32_e32 v0, 63, v0                                   // 000000002AE0: 260000BF
	s_mov_b32 s2, s2                                           // 000000002AE4: BE820002
	s_mov_b32 s3, s3                                           // 000000002AE8: BE830003
	s_mov_b32 s4, s4                                           // 000000002AEC: BE840004
	v_readfirstlane_b32 s7, v3                                 // 000000002AF0: 7E0E0503
	s_waitcnt lgkmcnt(0)                                       // 000000002AF4: BF8CC07F
	s_and_b32 s49, s49, 0xffff                                 // 000000002AF8: 8631FF31 0000FFFF
	s_load_dword s48, s[48:49], 0x0                            // 000000002B00: C0020C18 00000000
	s_and_b32 s45, s45, 0xffff                                 // 000000002B08: 862DFF2D 0000FFFF
	s_and_b32 s9, s9, 0xffff                                   // 000000002B10: 8609FF09 0000FFFF
	s_mul_i32 s60, s66, s68                                    // 000000002B18: 923C4442
	s_mul_i32 s61, s66, 4                                      // 000000002B1C: 923D8442
	s_mov_b32 s22, s60                                         // 000000002B20: BE96003C
	s_mov_b32 s26, -16                                         // 000000002B24: BE9A00D0
	s_mov_b32 s30, s61                                         // 000000002B28: BE9E003D
	s_mov_b32 s14, 64                                          // 000000002B2C: BE8E00C0
	s_mov_b32 s38, -16                                         // 000000002B30: BEA600D0
	s_mov_b32 s10, -16                                         // 000000002B34: BE8A00D0
	s_lshr_b32 s60, s64, 7                                     // 000000002B38: 8F3C8740
	s_mul_i32 s61, s60, 4                                      // 000000002B3C: 923D843C
	s_lshr_b32 s60, s65, 7                                     // 000000002B40: 8F3C8741
	s_add_u32 s60, s60, 1                                      // 000000002B44: 803C813C
	s_mul_i32 s60, s60, s61                                    // 000000002B48: 923C3D3C
	s_mov_b32 s34, s60                                         // 000000002B4C: BEA2003C
	s_mov_b32 s23, 0x20000                                     // 000000002B50: BE9700FF 00020000
	s_mov_b32 s27, 0x20000                                     // 000000002B58: BE9B00FF 00020000
	s_mov_b32 s31, 0x20000                                     // 000000002B60: BE9F00FF 00020000
	s_mov_b32 s35, 0x20000                                     // 000000002B68: BEA300FF 00020000
	s_mov_b32 s15, 0x20000                                     // 000000002B70: BE8F00FF 00020000
	s_mov_b32 s39, 0x20000                                     // 000000002B78: BEA700FF 00020000
	s_mov_b32 s11, 0x20000                                     // 000000002B80: BE8B00FF 00020000
	s_and_b32 s21, s21, 0xffff                                 // 000000002B88: 8615FF15 0000FFFF
	s_and_b32 s25, s25, 0xffff                                 // 000000002B90: 8619FF19 0000FFFF
	s_and_b32 s29, s29, 0xffff                                 // 000000002B98: 861DFF1D 0000FFFF
	s_and_b32 s33, s33, 0xffff                                 // 000000002BA0: 8621FF21 0000FFFF
	s_and_b32 s13, s13, 0xffff                                 // 000000002BA8: 860DFF0D 0000FFFF
	s_and_b32 s37, s37, 0xffff                                 // 000000002BB0: 8625FF25 0000FFFF
	s_or_b32 s21, s21, 0x40000                                 // 000000002BB8: 8715FF15 00040000
	s_or_b32 s25, s25, 0x40000                                 // 000000002BC0: 8719FF19 00040000
	s_or_b32 s29, s29, 0x40000                                 // 000000002BC8: 871DFF1D 00040000
	s_or_b32 s33, s33, 0x40000                                 // 000000002BD0: 8721FF21 00040000
	s_or_b32 s13, s13, 0x40000                                 // 000000002BD8: 870DFF0D 00040000
	s_or_b32 s37, s37, 0x40000                                 // 000000002BE0: 8725FF25 00040000
	v_accvgpr_write_b32 a63, 0                                 // 000000002BE8: D3D9403F 18000080
	v_mov_b32_e32 v55, 0                                       // 000000002BF0: 7E6E0280
	s_waitcnt lgkmcnt(0)                                       // 000000002BF4: BF8CC07F
	s_mul_i32 s60, s3, 16                                      // 000000002BF8: 923C9003
	s_cmp_lt_i32 s60, s48                                      // 000000002BFC: BF04303C
	s_cbranch_scc0 label_0D3D                                  // 000000002C00: BF840CB9
	s_mov_b32 s80, 0                                           // 000000002C04: BED00080
	s_lshr_b32 s81, s64, s88                                   // 000000002C08: 8F515840
	s_mul_i32 s60, s3, 4                                       // 000000002C0C: 923C8403
	s_add_u32 s44, s60, s44                                    // 000000002C10: 802C2C3C
	s_addc_u32 s45, 0, s45                                     // 000000002C14: 822D2D80
	s_load_dword s5, s[44:45], 0x0                             // 000000002C18: C0020156 00000000
	s_mul_i32 s60, s3, 16                                      // 000000002C20: 923C9003
	s_mul_i32 s60, 4, s60                                      // 000000002C24: 923C3C84
	s_add_u32 s12, s60, s12                                    // 000000002C28: 800C0C3C
	s_addc_u32 s13, 0, s13                                     // 000000002C2C: 820D0D80
	v_and_b32_e32 v4, 15, v0                                   // 000000002C30: 2608008F
	v_lshlrev_b32_e32 v4, 2, v4                                // 000000002C34: 24080882
	buffer_load_dword v30, v4, s[12:15], 0 offen               // 000000002C38: E0501000 80031E04
	v_add_u32_e32 v4, 64, v4                                   // 000000002C40: 680808C0
	s_mul_i32 s60, 4, s7                                       // 000000002C44: 923C0784
	v_lshlrev_b32_e32 v4, 4, v0                                // 000000002C48: 24080084
	v_add_u32_e32 v4, s60, v4                                  // 000000002C4C: 6808083C
	buffer_load_dword v3, v4, s[12:15], 0 offen                // 000000002C50: E0501000 80030304
	v_mov_b32_e32 v40, 0                                       // 000000002C58: 7E500280
	v_mov_b32_e32 v48, 0                                       // 000000002C5C: 7E600280
	v_mov_b32_e32 v41, 0                                       // 000000002C60: 7E520280
	v_mov_b32_e32 v49, 0                                       // 000000002C64: 7E620280
	v_mov_b32_e32 v42, 0                                       // 000000002C68: 7E540280
	v_mov_b32_e32 v50, 0                                       // 000000002C6C: 7E640280
	v_mov_b32_e32 v43, 0                                       // 000000002C70: 7E560280
	v_mov_b32_e32 v51, 0                                       // 000000002C74: 7E660280
	v_mov_b32_e32 v44, 0                                       // 000000002C78: 7E580280
	v_mov_b32_e32 v52, 0                                       // 000000002C7C: 7E680280
	v_mov_b32_e32 v45, 0                                       // 000000002C80: 7E5A0280
	v_mov_b32_e32 v53, 0                                       // 000000002C84: 7E6A0280
	v_mov_b32_e32 v46, 0                                       // 000000002C88: 7E5C0280
	v_mov_b32_e32 v54, 0                                       // 000000002C8C: 7E6C0280
	v_mov_b32_e32 v47, 0                                       // 000000002C90: 7E5E0280
	v_mov_b32_e32 v55, 0                                       // 000000002C94: 7E6E0280
	s_mul_i32 s60, s2, 0x80                                    // 000000002C98: 923CFF02 00000080
	s_cmp_eq_u32 s88, 0                                        // 000000002CA0: BF068058
	s_cselect_b32 s61, 1, 4                                    // 000000002CA4: 853D8481
	s_mul_i32 s60, s60, s61                                    // 000000002CA8: 923C3D3C
	s_mov_b32 s90, s8                                          // 000000002CAC: BEDA0008
	s_mov_b32 s91, s9                                          // 000000002CB0: BEDB0009
	s_add_u32 s8, s60, s8                                      // 000000002CB4: 8008083C
	s_addc_u32 s9, 0, s9                                       // 000000002CB8: 82090980
	v_lshrrev_b32_e32 v4, 4, v0                                // 000000002CBC: 20080084
	v_mul_lo_u32 v20, 34, v4                                   // 000000002CC0: D2850014 000208A2
	v_and_b32_e32 v4, 15, v0                                   // 000000002CC8: 2608008F
	v_mul_lo_u32 v5, 2, v4                                     // 000000002CCC: D2850005 00020882
	v_add_u32_e32 v20, v5, v20                                 // 000000002CD4: 68282905
	s_mul_i32 s60, s7, 0x88                                    // 000000002CD8: 923CFF07 00000088
	v_add_u32_e32 v20, s60, v20                                // 000000002CE0: 6828283C
	v_lshlrev_b32_e32 v20, 2, v20                              // 000000002CE4: 24282882
	v_and_b32_e32 v4, 31, v0                                   // 000000002CE8: 2608009F
	v_lshrrev_b32_e32 v4, 1, v4                                // 000000002CEC: 20080881
	v_mul_lo_u32 v21, 34, v4                                   // 000000002CF0: D2850015 000208A2
	v_lshrrev_b32_e32 v4, 5, v0                                // 000000002CF8: 20080085
	v_mul_lo_u32 v4, 8, v4                                     // 000000002CFC: D2850004 00020888
	v_add_u32_e32 v21, v21, v4                                 // 000000002D04: 682A0915
	v_and_b32_e32 v5, 1, v0                                    // 000000002D08: 260A0081
	v_add_u32_e32 v21, v5, v21                                 // 000000002D0C: 682A2B05
	s_mul_i32 s60, s7, 2                                       // 000000002D10: 923C8207
	v_add_u32_e32 v21, s60, v21                                // 000000002D14: 682A2A3C
	v_lshlrev_b32_e32 v21, 2, v21                              // 000000002D18: 242A2A82
	s_mul_i32 s60, s7, 0x220                                   // 000000002D1C: 923CFF07 00000220
	s_add_u32 s48, 0, s60                                      // 000000002D24: 80303C80
	s_add_u32 s49, 0x880, s48                                  // 000000002D28: 803130FF 00000880
	s_add_u32 s50, 0x880, s49                                  // 000000002D30: 803231FF 00000880
	v_lshrrev_b32_e32 v4, 4, v0                                // 000000002D38: 20080084
	v_lshlrev_b32_e32 v5, 2, v4                                // 000000002D3C: 240A0882
	v_and_b32_e32 v4, 15, v0                                   // 000000002D40: 2608008F
	v_lshrrev_b32_e32 v6, 2, v4                                // 000000002D44: 200C0882
	v_lshlrev_b32_e32 v6, 5, v6                                // 000000002D48: 240C0C85
	v_add_u32_e32 v5, v6, v5                                   // 000000002D4C: 680A0B06
	v_and_b32_e32 v4, 3, v0                                    // 000000002D50: 26080083
	v_mul_u32_u24_e32 v6, 0x88, v4                             // 000000002D54: 100C08FF 00000088
	v_add_u32_e32 v5, v6, v5                                   // 000000002D5C: 680A0B06
	v_lshlrev_b32_e32 v2, 2, v5                                // 000000002D60: 24040A82
	s_waitcnt lgkmcnt(0)                                       // 000000002D64: BF8CC07F
	s_mul_i32 s60, s2, 0x80                                    // 000000002D68: 923CFF02 00000080
	s_mul_i32 s60, s60, s69                                    // 000000002D70: 923C453C
	s_mul_i32 s61, s5, s72                                     // 000000002D74: 923D4805
	s_add_u32 s60, s61, s60                                    // 000000002D78: 803C3C3D
	s_add_u32 s24, s60, s24                                    // 000000002D7C: 8018183C
	s_addc_u32 s25, 0, s25                                     // 000000002D80: 82191980
	s_lshr_b32 s60, s64, s88                                   // 000000002D84: 8F3C5840
	s_mul_i32 s60, s4, s60                                     // 000000002D88: 923C3C04
	s_lshr_b32 s60, s60, 7                                     // 000000002D8C: 8F3C873C
	s_mul_i32 s60, s60, 0x800                                  // 000000002D90: 923CFF3C 00000800
	s_add_u32 s24, s60, s24                                    // 000000002D98: 8018183C
	s_addc_u32 s25, 0, s25                                     // 000000002D9C: 82191980
	s_lshr_b32 s60, s69, s88                                   // 000000002DA0: 8F3C5845
	s_mul_i32 s60, s4, s60                                     // 000000002DA4: 923C3C04
	s_add_u32 s20, s60, s20                                    // 000000002DA8: 8014143C
	s_addc_u32 s21, 0, s21                                     // 000000002DAC: 82151580
	s_mul_i32 s60, s7, 16                                      // 000000002DB0: 923C9007
	s_mul_i32 s60, s60, s69                                    // 000000002DB4: 923C453C
	v_lshlrev_b32_e32 v36, 4, v0                               // 000000002DB8: 24480084
	v_add_u32_e32 v36, s60, v36                                // 000000002DBC: 6848483C
	s_mul_i32 s60, 64, s69                                     // 000000002DC0: 923C45C0
	v_add_u32_e32 v37, s60, v36                                // 000000002DC4: 684A483C
	s_mov_b32 s84, s24                                         // 000000002DC8: BED40018
	s_mov_b32 s85, s25                                         // 000000002DCC: BED50019
	s_mov_b32 s86, s26                                         // 000000002DD0: BED6001A
	s_mov_b32 s87, s27                                         // 000000002DD4: BED7001B
	s_mul_i32 s60, s69, s65                                    // 000000002DD8: 923C4145
	s_add_u32 s84, s60, s84                                    // 000000002DDC: 8054543C
	s_addc_u32 s85, 0, s85                                     // 000000002DE0: 82555580
	s_lshr_b32 s60, s64, 7                                     // 000000002DE4: 8F3C8740
	s_mul_i32 s61, s60, 4                                      // 000000002DE8: 923D843C
	v_and_b32_e32 v22, 15, v0                                  // 000000002DEC: 262C008F
	v_mul_lo_u32 v22, v22, s61                                 // 000000002DF0: D2850016 00007B16
	s_lshr_b32 s60, s65, 7                                     // 000000002DF8: 8F3C8741
	s_mul_i32 s60, s60, s61                                    // 000000002DFC: 923C3D3C
	v_add_u32_e64 v23, v22, s60                                // 000000002E00: D1340017 00007916
	s_mul_i32 s60, s2, 1                                       // 000000002E08: 923C8102
	s_mul_i32 s60, s60, s61                                    // 000000002E0C: 923C3D3C
	s_mul_i32 s61, s5, s74                                     // 000000002E10: 923D4A05
	s_add_u32 s61, s61, s60                                    // 000000002E14: 803D3C3D
	s_add_u32 s32, s61, s32                                    // 000000002E18: 8020203D
	s_addc_u32 s33, 0, s33                                     // 000000002E1C: 82212180
	s_lshr_b32 s60, s64, 7                                     // 000000002E20: 8F3C8740
	s_lshr_b32 s60, s60, s88                                   // 000000002E24: 8F3C583C
	s_mul_i32 s60, s4, s60                                     // 000000002E28: 923C3C04
	s_mul_i32 s61, s60, 4                                      // 000000002E2C: 923D843C
	s_add_u32 s32, s61, s32                                    // 000000002E30: 8020203D
	s_addc_u32 s33, 0, s33                                     // 000000002E34: 82212180
	s_lshl_b32 s62, s66, 2                                     // 000000002E38: 8E3E8242
	s_mul_i32 s62, s60, s62                                    // 000000002E3C: 923E3E3C
	s_add_u32 s28, s62, s28                                    // 000000002E40: 801C1C3E
	s_addc_u32 s29, 0, s29                                     // 000000002E44: 821D1D80
	s_mov_b32 s4, 4                                            // 000000002E48: BE840084
	s_mov_b32 s57, 0x80                                        // 000000002E4C: BEB900FF 00000080
	s_mov_b32 s58, 0x800                                       // 000000002E54: BEBA00FF 00000800
	s_mov_b32 s83, s58                                         // 000000002E5C: BED3003A
	s_mov_b32 s52, 0x7060302                                   // 000000002E60: BEB400FF 07060302
	s_mov_b32 s53, 0x400                                       // 000000002E68: BEB500FF 00000400
	s_mov_b32 s54, 0x40100                                     // 000000002E70: BEB600FF 00040100
	s_mov_b32 s55, 0x4020100                                   // 000000002E78: BEB700FF 04020100
	s_mov_b32 s6, 0x3fb8aa3b                                   // 000000002E80: BE8600FF 3FB8AA3B
	s_mov_b32 s78, 0xbd92220c                                  // 000000002E88: BECE00FF BD92220C
	s_mov_b32 s79, 0xbd92220c                                  // 000000002E90: BECF00FF BD92220C
	s_mov_b32 m0, s48                                          // 000000002E98: BEFC0030
	v_mov_b32_e32 v1, 0xbfcc4231                               // 000000002E9C: 7E0202FF BFCC4231
	v_mov_b32_e32 v17, 0xffff0000                              // 000000002EA4: 7E2202FF FFFF0000
	v_mov_b32_e32 v18, 0x7fff0000                              // 000000002EAC: 7E2402FF 7FFF0000
	v_mov_b32_e32 v19, 0x7fff                                  // 000000002EB4: 7E2602FF 00007FFF
	s_waitcnt vmcnt(0) expcnt(0) lgkmcnt(0)                    // 000000002EBC: BF8C0000
	v_lshrrev_b32_e32 v4, 5, v0                                // 000000002EC0: 20080085
	v_xor_b32_e32 v5, 1, v4                                    // 000000002EC4: 2A0A0881
	v_readlane_b32 s82, v3, 0                                  // 000000002EC8: D2890052 00010103
	s_and_b32 s82, s82, 0xffffff                               // 000000002ED0: 8652FF52 00FFFFFF
	v_mul_lo_u32 v6, v5, s82                                   // 000000002ED8: D2850006 0000A505
	v_readlane_b32 s82, v3, 1                                  // 000000002EE0: D2890052 00010303
	s_and_b32 s82, s82, 0xffffff                               // 000000002EE8: 8652FF52 00FFFFFF
	v_mul_lo_u32 v7, v4, s82                                   // 000000002EF0: D2850007 0000A504
	v_add_u32_e32 v34, v6, v7                                  // 000000002EF8: 68440F06
	v_mul_lo_u32 v34, v34, s68                                 // 000000002EFC: D2850022 00008922
	v_readlane_b32 s82, v3, 2                                  // 000000002F04: D2890052 00010503
	s_and_b32 s82, s82, 0xffffff                               // 000000002F0C: 8652FF52 00FFFFFF
	v_mul_lo_u32 v6, v5, s82                                   // 000000002F14: D2850006 0000A505
	v_readlane_b32 s82, v3, 3                                  // 000000002F1C: D2890052 00010703
	s_and_b32 s82, s82, 0xffffff                               // 000000002F24: 8652FF52 00FFFFFF
	v_mul_lo_u32 v7, v4, s82                                   // 000000002F2C: D2850007 0000A504
	v_add_u32_e32 v35, v6, v7                                  // 000000002F34: 68460F06
	v_mul_lo_u32 v35, v35, s68                                 // 000000002F38: D2850023 00008923
	v_and_b32_e32 v4, 31, v0                                   // 000000002F40: 2608009F
	v_lshlrev_b32_e32 v4, 2, v4                                // 000000002F44: 24080882
	v_add_u32_e32 v34, v34, v4                                 // 000000002F48: 68440922
	v_add_u32_e32 v35, v35, v4                                 // 000000002F4C: 68460923
	v_and_b32_e32 v30, 0xffffff, v30                           // 000000002F50: 263C3CFF 00FFFFFF
	v_lshlrev_b32_e32 v30, 2, v30                              // 000000002F58: 243C3C82
	s_lshl_b32 s3, s66, 2                                      // 000000002F5C: 8E038242
	buffer_load_dword v34, s[20:23], 0 offen lds               // 000000002F60: E0511000 80050022
	s_add_u32 m0, 0x100, s48                                   // 000000002F68: 807C30FF 00000100
	buffer_load_dword v35, s[20:23], 0 offen lds               // 000000002F70: E0511000 80050023
	s_add_u32 m0, 0, s49                                       // 000000002F78: 807C3180
	s_add_u32 s20, s57, s20                                    // 000000002F7C: 80141439
	s_addc_u32 s21, 0, s21                                     // 000000002F80: 82151580
	buffer_load_dword v31, v30, s[28:31], 0 offen              // 000000002F84: E0501000 80071F1E
	s_add_u32 s28, s3, s28                                     // 000000002F8C: 801C1C03
	s_addc_u32 s29, 0, s29                                     // 000000002F90: 821D1D80
	buffer_load_dwordx4 a[16:19], v36, s[24:27], 0 offen       // 000000002F94: E05C1000 80861024
	buffer_load_dwordx4 a[20:23], v36, s[24:27], 0 offen offset:1024// 000000002F9C: E05C1400 80861424
	buffer_load_dwordx4 a[24:27], v37, s[24:27], 0 offen       // 000000002FA4: E05C1000 80861825
	buffer_load_dwordx4 a[28:31], v37, s[24:27], 0 offen offset:1024// 000000002FAC: E05C1400 80861C25
	s_add_u32 s24, s58, s24                                    // 000000002FB4: 8018183A
	s_addc_u32 s25, 0, s25                                     // 000000002FB8: 82191980
	buffer_load_dword v24, v22, s[32:35], 0 offen              // 000000002FBC: E0501000 80081816
	buffer_load_dword v34, s[20:23], 0 offen lds               // 000000002FC4: E0511000 80050022
	s_add_u32 m0, 0x100, s49                                   // 000000002FCC: 807C31FF 00000100
	buffer_load_dword v35, s[20:23], 0 offen lds               // 000000002FD4: E0511000 80050023
	s_add_u32 m0, 0, s50                                       // 000000002FDC: 807C3280
	s_add_u32 s20, s57, s20                                    // 000000002FE0: 80141439
	s_addc_u32 s21, 0, s21                                     // 000000002FE4: 82151580
	buffer_load_dword v32, v30, s[28:31], 0 offen              // 000000002FE8: E0501000 8007201E
	s_add_u32 s28, s3, s28                                     // 000000002FF0: 801C1C03
	s_addc_u32 s29, 0, s29                                     // 000000002FF4: 821D1D80
	buffer_load_dwordx4 a[32:35], v36, s[84:87], 0 offen       // 000000002FF8: E05C1000 80952024
	buffer_load_dwordx4 a[36:39], v36, s[84:87], 0 offen offset:1024// 000000003000: E05C1400 80952424
	buffer_load_dwordx4 a[40:43], v37, s[84:87], 0 offen       // 000000003008: E05C1000 80952825
	buffer_load_dwordx4 a[44:47], v37, s[84:87], 0 offen offset:1024// 000000003010: E05C1400 80952C25
	s_add_u32 s84, s83, s84                                    // 000000003018: 80545453
	s_addc_u32 s85, 0, s85                                     // 00000000301C: 82555580
	buffer_load_dword v27, v23, s[32:35], 0 offen              // 000000003020: E0501000 80081B17
	s_add_u32 s32, s4, s32                                     // 000000003028: 80202004
	s_addc_u32 s33, 0, s33                                     // 00000000302C: 82212180
	s_waitcnt vmcnt(14)                                        // 000000003030: BF8C0F7E
	s_barrier                                                  // 000000003034: BF8A0000
	ds_read_b128 a[0:3], v2                                    // 000000003038: DBFE0000 00000002
	ds_read_b128 a[4:7], v2 offset:64                          // 000000003040: DBFE0040 04000002
	s_cmp_lt_i32 s7, 2                                         // 000000003048: BF048207
	s_cbranch_scc0 label_076A                                  // 00000000304C: BF8405D3

0000000000003050 <label_0194>:
	s_waitcnt vmcnt(8) lgkmcnt(0)                              // 000000003050: BF8C0078
	v_mul_f32_dpp v4, v24, v31 row_newbcast:0 row_mask:0xf bank_mask:0xf// 000000003054: 0A083EFA FF015018
	v_mfma_f32_16x16x32_fp8_fp8 v[8:11], a[16:17], a[0:1], 0   // 00000000305C: D3F30008 1A020110
	buffer_load_dword v25, v22, s[32:35], 0 offen              // 000000003064: E0501000 80081916
	v_mfma_f32_16x16x32_fp8_fp8 v[8:11], a[18:19], a[2:3], v[8:11]// 00000000306C: D3F30008 1C220512
	buffer_load_dwordx4 a[48:51], v36, s[24:27], 0 offen       // 000000003074: E05C1000 80863024
	v_mfma_f32_16x16x32_fp8_fp8 v[8:11], a[20:21], a[4:5], v[8:11]// 00000000307C: D3F30008 1C220914
	v_mfma_f32_16x16x32_fp8_fp8 v[8:11], a[22:23], a[6:7], v[8:11]// 000000003084: D3F30008 1C220D16
	v_mfma_f32_16x16x32_fp8_fp8 v[12:15], a[24:25], a[0:1], 0  // 00000000308C: D3F3000C 1A020118
	v_mfma_f32_16x16x32_fp8_fp8 v[12:15], a[26:27], a[2:3], v[12:15]// 000000003094: D3F3000C 1C32051A
	buffer_load_dwordx4 a[52:55], v36, s[24:27], 0 offen offset:1024// 00000000309C: E05C1400 80863424
	v_mfma_f32_16x16x32_fp8_fp8 v[12:15], a[28:29], a[4:5], v[12:15]// 0000000030A4: D3F3000C 1C32091C
	v_mfma_f32_16x16x32_fp8_fp8 v[12:15], a[30:31], a[6:7], v[12:15]// 0000000030AC: D3F3000C 1C320D1E
	v_fma_f32 v40, v8, v4, v40                                 // 0000000030B4: D1CB0028 04A20908
	v_fma_f32 v41, v9, v4, v41                                 // 0000000030BC: D1CB0029 04A60909
	v_fma_f32 v42, v10, v4, v42                                // 0000000030C4: D1CB002A 04AA090A
	v_fma_f32 v43, v11, v4, v43                                // 0000000030CC: D1CB002B 04AE090B
	v_fma_f32 v44, v12, v4, v44                                // 0000000030D4: D1CB002C 04B2090C
	v_fma_f32 v45, v13, v4, v45                                // 0000000030DC: D1CB002D 04B6090D
	v_fma_f32 v46, v14, v4, v46                                // 0000000030E4: D1CB002E 04BA090E
	v_fma_f32 v47, v15, v4, v47                                // 0000000030EC: D1CB002F 04BE090F
	buffer_load_dwordx4 a[56:59], v37, s[24:27], 0 offen       // 0000000030F4: E05C1000 80863825
	buffer_load_dwordx4 a[60:63], v37, s[24:27], 0 offen offset:1024// 0000000030FC: E05C1400 80863C25
	buffer_load_dword v34, s[20:23], 0 offen lds               // 000000003104: E0511000 80050022
	s_add_u32 m0, 0x100, s50                                   // 00000000310C: 807C32FF 00000100
	buffer_load_dword v35, s[20:23], 0 offen lds               // 000000003114: E0511000 80050023
	s_add_u32 m0, 0, s48                                       // 00000000311C: 807C3080
	buffer_load_dword v33, v30, s[28:31], 0 offen              // 000000003120: E0501000 8007211E
	s_waitcnt vmcnt(8)                                         // 000000003128: BF8C0F78
	s_barrier                                                  // 00000000312C: BF8A0000
	v_mul_f32_dpp v4, v27, v31 row_newbcast:0 row_mask:0xf bank_mask:0xf// 000000003130: 0A083EFA FF01501B
	v_mfma_f32_16x16x32_fp8_fp8 v[8:11], a[32:33], a[0:1], 0   // 000000003138: D3F30008 1A020120
	buffer_load_dword v28, v23, s[32:35], 0 offen              // 000000003140: E0501000 80081C17
	s_add_u32 s60, 0x180, s80                                  // 000000003148: 803C50FF 00000180
	s_cmp_lt_u32 s60, s81                                      // 000000003150: BF0A513C
	s_cselect_b32 s57, s57, 0                                  // 000000003154: 85398039
	s_cselect_b32 s3, s3, 0                                    // 000000003158: 85038003
	v_mfma_f32_16x16x32_fp8_fp8 v[8:11], a[34:35], a[2:3], v[8:11]// 00000000315C: D3F30008 1C220522
	buffer_load_dwordx4 a[16:19], v36, s[84:87], 0 offen       // 000000003164: E05C1000 80951024
	s_add_u32 s60, 0x100, s80                                  // 00000000316C: 803C50FF 00000100
	s_cmp_lt_u32 s60, s81                                      // 000000003174: BF0A513C
	s_cselect_b32 s58, s58, 0                                  // 000000003178: 853A803A
	v_mfma_f32_16x16x32_fp8_fp8 v[8:11], a[36:37], a[4:5], v[8:11]// 00000000317C: D3F30008 1C220924
	s_add_u32 s60, 0x100, s80                                  // 000000003184: 803C50FF 00000100
	s_cmp_lt_u32 s60, s81                                      // 00000000318C: BF0A513C
	s_cselect_b32 s83, s83, 0                                  // 000000003190: 85538053
	s_cselect_b32 s4, s4, 0                                    // 000000003194: 85048004
	v_mfma_f32_16x16x32_fp8_fp8 v[8:11], a[38:39], a[6:7], v[8:11]// 000000003198: D3F30008 1C220D26
	ds_read_b128 a[8:11], v2 offset:2176                       // 0000000031A0: DBFE0880 08000002
	ds_read_b128 a[12:15], v2 offset:2240                      // 0000000031A8: DBFE08C0 0C000002
	s_add_u32 s24, s58, s24                                    // 0000000031B0: 8018183A
	s_addc_u32 s25, 0, s25                                     // 0000000031B4: 82191980
	v_mfma_f32_16x16x32_fp8_fp8 v[12:15], a[40:41], a[0:1], 0  // 0000000031B8: D3F3000C 1A020128
	s_add_u32 s20, s57, s20                                    // 0000000031C0: 80141439
	s_addc_u32 s21, 0, s21                                     // 0000000031C4: 82151580
	s_add_u32 s28, s3, s28                                     // 0000000031C8: 801C1C03
	s_addc_u32 s29, 0, s29                                     // 0000000031CC: 821D1D80
	v_mfma_f32_16x16x32_fp8_fp8 v[12:15], a[42:43], a[2:3], v[12:15]// 0000000031D0: D3F3000C 1C32052A
	buffer_load_dwordx4 a[20:23], v36, s[84:87], 0 offen offset:1024// 0000000031D8: E05C1400 80951424
	v_mfma_f32_16x16x32_fp8_fp8 v[12:15], a[44:45], a[4:5], v[12:15]// 0000000031E0: D3F3000C 1C32092C
	s_add_u32 s32, s4, s32                                     // 0000000031E8: 80202004
	s_addc_u32 s33, 0, s33                                     // 0000000031EC: 82212180
	v_mfma_f32_16x16x32_fp8_fp8 v[12:15], a[46:47], a[6:7], v[12:15]// 0000000031F0: D3F3000C 1C320D2E
	v_fma_f32 v48, v8, v4, v48                                 // 0000000031F8: D1CB0030 04C20908
	v_fma_f32 v49, v9, v4, v49                                 // 000000003200: D1CB0031 04C60909
	v_fma_f32 v50, v10, v4, v50                                // 000000003208: D1CB0032 04CA090A
	v_fma_f32 v51, v11, v4, v51                                // 000000003210: D1CB0033 04CE090B
	v_fma_f32 v52, v12, v4, v52                                // 000000003218: D1CB0034 04D2090C
	v_fma_f32 v53, v13, v4, v53                                // 000000003220: D1CB0035 04D6090D
	v_fma_f32 v54, v14, v4, v54                                // 000000003228: D1CB0036 04DA090E
	v_fma_f32 v55, v15, v4, v55                                // 000000003230: D1CB0037 04DE090F
	buffer_load_dwordx4 a[24:27], v37, s[84:87], 0 offen       // 000000003238: E05C1000 80951825
	buffer_load_dwordx4 a[28:31], v37, s[84:87], 0 offen offset:1024// 000000003240: E05C1400 80951C25
	s_add_u32 s84, s83, s84                                    // 000000003248: 80545453
	s_addc_u32 s85, 0, s85                                     // 00000000324C: 82555580
	s_addk_i32 s80, 0x80                                       // 000000003250: B7500080
	s_cmp_lt_i32 s80, s81                                      // 000000003254: BF045150
	s_cbranch_scc0 label_04A7                                  // 000000003258: BF840290
	s_waitcnt vmcnt(8) lgkmcnt(0)                              // 00000000325C: BF8C0078
	v_mul_f32_dpp v4, v25, v32 row_newbcast:0 row_mask:0xf bank_mask:0xf// 000000003260: 0A0840FA FF015019
	v_mfma_f32_16x16x32_fp8_fp8 v[8:11], a[48:49], a[8:9], 0   // 000000003268: D3F30008 1A021130
	buffer_load_dword v26, v22, s[32:35], 0 offen              // 000000003270: E0501000 80081A16
	v_mfma_f32_16x16x32_fp8_fp8 v[8:11], a[50:51], a[10:11], v[8:11]// 000000003278: D3F30008 1C221532
	buffer_load_dwordx4 a[32:35], v36, s[24:27], 0 offen       // 000000003280: E05C1000 80862024
	v_mfma_f32_16x16x32_fp8_fp8 v[8:11], a[52:53], a[12:13], v[8:11]// 000000003288: D3F30008 1C221934
	v_mfma_f32_16x16x32_fp8_fp8 v[8:11], a[54:55], a[14:15], v[8:11]// 000000003290: D3F30008 1C221D36
	v_mfma_f32_16x16x32_fp8_fp8 v[12:15], a[56:57], a[8:9], 0  // 000000003298: D3F3000C 1A021138
	v_mfma_f32_16x16x32_fp8_fp8 v[12:15], a[58:59], a[10:11], v[12:15]// 0000000032A0: D3F3000C 1C32153A
	buffer_load_dwordx4 a[36:39], v36, s[24:27], 0 offen offset:1024// 0000000032A8: E05C1400 80862424
	v_mfma_f32_16x16x32_fp8_fp8 v[12:15], a[60:61], a[12:13], v[12:15]// 0000000032B0: D3F3000C 1C32193C
	v_mfma_f32_16x16x32_fp8_fp8 v[12:15], a[62:63], a[14:15], v[12:15]// 0000000032B8: D3F3000C 1C321D3E
	v_fma_f32 v40, v8, v4, v40                                 // 0000000032C0: D1CB0028 04A20908
	v_fma_f32 v41, v9, v4, v41                                 // 0000000032C8: D1CB0029 04A60909
	v_fma_f32 v42, v10, v4, v42                                // 0000000032D0: D1CB002A 04AA090A
	v_fma_f32 v43, v11, v4, v43                                // 0000000032D8: D1CB002B 04AE090B
	v_fma_f32 v44, v12, v4, v44                                // 0000000032E0: D1CB002C 04B2090C
	v_fma_f32 v45, v13, v4, v45                                // 0000000032E8: D1CB002D 04B6090D
	v_fma_f32 v46, v14, v4, v46                                // 0000000032F0: D1CB002E 04BA090E
	v_fma_f32 v47, v15, v4, v47                                // 0000000032F8: D1CB002F 04BE090F
	buffer_load_dwordx4 a[40:43], v37, s[24:27], 0 offen       // 000000003300: E05C1000 80862825
	buffer_load_dwordx4 a[44:47], v37, s[24:27], 0 offen offset:1024// 000000003308: E05C1400 80862C25
	buffer_load_dword v34, s[20:23], 0 offen lds               // 000000003310: E0511000 80050022
	s_add_u32 m0, 0x100, s48                                   // 000000003318: 807C30FF 00000100
	buffer_load_dword v35, s[20:23], 0 offen lds               // 000000003320: E0511000 80050023
	s_add_u32 m0, 0, s49                                       // 000000003328: 807C3180
	buffer_load_dword v31, v30, s[28:31], 0 offen              // 00000000332C: E0501000 80071F1E
	s_waitcnt vmcnt(8)                                         // 000000003334: BF8C0F78
	s_barrier                                                  // 000000003338: BF8A0000
	v_mul_f32_dpp v4, v28, v32 row_newbcast:0 row_mask:0xf bank_mask:0xf// 00000000333C: 0A0840FA FF01501C
	v_mfma_f32_16x16x32_fp8_fp8 v[8:11], a[16:17], a[8:9], 0   // 000000003344: D3F30008 1A021110
	buffer_load_dword v29, v23, s[32:35], 0 offen              // 00000000334C: E0501000 80081D17
	s_add_u32 s60, 0x180, s80                                  // 000000003354: 803C50FF 00000180
	s_cmp_lt_u32 s60, s81                                      // 00000000335C: BF0A513C
	s_cselect_b32 s57, s57, 0                                  // 000000003360: 85398039
	s_cselect_b32 s3, s3, 0                                    // 000000003364: 85038003
	v_mfma_f32_16x16x32_fp8_fp8 v[8:11], a[18:19], a[10:11], v[8:11]// 000000003368: D3F30008 1C221512
	buffer_load_dwordx4 a[48:51], v36, s[84:87], 0 offen       // 000000003370: E05C1000 80953024
	s_add_u32 s60, 0x100, s80                                  // 000000003378: 803C50FF 00000100
	s_cmp_lt_u32 s60, s81                                      // 000000003380: BF0A513C
	s_cselect_b32 s58, s58, 0                                  // 000000003384: 853A803A
	v_mfma_f32_16x16x32_fp8_fp8 v[8:11], a[20:21], a[12:13], v[8:11]// 000000003388: D3F30008 1C221914
	s_add_u32 s60, 0x100, s80                                  // 000000003390: 803C50FF 00000100
	s_cmp_lt_u32 s60, s81                                      // 000000003398: BF0A513C
	s_cselect_b32 s83, s83, 0                                  // 00000000339C: 85538053
	s_cselect_b32 s4, s4, 0                                    // 0000000033A0: 85048004
	v_mfma_f32_16x16x32_fp8_fp8 v[8:11], a[22:23], a[14:15], v[8:11]// 0000000033A4: D3F30008 1C221D16
	ds_read_b128 a[0:3], v2 offset:4352                        // 0000000033AC: DBFE1100 00000002
	ds_read_b128 a[4:7], v2 offset:4416                        // 0000000033B4: DBFE1140 04000002
	s_add_u32 s24, s58, s24                                    // 0000000033BC: 8018183A
	s_addc_u32 s25, 0, s25                                     // 0000000033C0: 82191980
	v_mfma_f32_16x16x32_fp8_fp8 v[12:15], a[24:25], a[8:9], 0  // 0000000033C4: D3F3000C 1A021118
	s_add_u32 s20, s57, s20                                    // 0000000033CC: 80141439
	s_addc_u32 s21, 0, s21                                     // 0000000033D0: 82151580
	s_add_u32 s28, s3, s28                                     // 0000000033D4: 801C1C03
	s_addc_u32 s29, 0, s29                                     // 0000000033D8: 821D1D80
	v_mfma_f32_16x16x32_fp8_fp8 v[12:15], a[26:27], a[10:11], v[12:15]// 0000000033DC: D3F3000C 1C32151A
	buffer_load_dwordx4 a[52:55], v36, s[84:87], 0 offen offset:1024// 0000000033E4: E05C1400 80953424
	v_mfma_f32_16x16x32_fp8_fp8 v[12:15], a[28:29], a[12:13], v[12:15]// 0000000033EC: D3F3000C 1C32191C
	s_add_u32 s32, s4, s32                                     // 0000000033F4: 80202004
	s_addc_u32 s33, 0, s33                                     // 0000000033F8: 82212180
	v_mfma_f32_16x16x32_fp8_fp8 v[12:15], a[30:31], a[14:15], v[12:15]// 0000000033FC: D3F3000C 1C321D1E
	v_fma_f32 v48, v8, v4, v48                                 // 000000003404: D1CB0030 04C20908
	v_fma_f32 v49, v9, v4, v49                                 // 00000000340C: D1CB0031 04C60909
	v_fma_f32 v50, v10, v4, v50                                // 000000003414: D1CB0032 04CA090A
	v_fma_f32 v51, v11, v4, v51                                // 00000000341C: D1CB0033 04CE090B
	v_fma_f32 v52, v12, v4, v52                                // 000000003424: D1CB0034 04D2090C
	v_fma_f32 v53, v13, v4, v53                                // 00000000342C: D1CB0035 04D6090D
	v_fma_f32 v54, v14, v4, v54                                // 000000003434: D1CB0036 04DA090E
	v_fma_f32 v55, v15, v4, v55                                // 00000000343C: D1CB0037 04DE090F
	buffer_load_dwordx4 a[56:59], v37, s[84:87], 0 offen       // 000000003444: E05C1000 80953825
	buffer_load_dwordx4 a[60:63], v37, s[84:87], 0 offen offset:1024// 00000000344C: E05C1400 80953C25
	s_add_u32 s84, s83, s84                                    // 000000003454: 80545453
	s_addc_u32 s85, 0, s85                                     // 000000003458: 82555580
	s_addk_i32 s80, 0x80                                       // 00000000345C: B7500080
	s_cmp_lt_i32 s80, s81                                      // 000000003460: BF045150
	s_cbranch_scc0 label_04A7                                  // 000000003464: BF84020D
	s_waitcnt vmcnt(8) lgkmcnt(0)                              // 000000003468: BF8C0078
	v_mul_f32_dpp v4, v26, v33 row_newbcast:0 row_mask:0xf bank_mask:0xf// 00000000346C: 0A0842FA FF01501A
	v_mfma_f32_16x16x32_fp8_fp8 v[8:11], a[32:33], a[0:1], 0   // 000000003474: D3F30008 1A020120
	buffer_load_dword v24, v22, s[32:35], 0 offen              // 00000000347C: E0501000 80081816
	v_mfma_f32_16x16x32_fp8_fp8 v[8:11], a[34:35], a[2:3], v[8:11]// 000000003484: D3F30008 1C220522
	buffer_load_dwordx4 a[16:19], v36, s[24:27], 0 offen       // 00000000348C: E05C1000 80861024
	v_mfma_f32_16x16x32_fp8_fp8 v[8:11], a[36:37], a[4:5], v[8:11]// 000000003494: D3F30008 1C220924
	v_mfma_f32_16x16x32_fp8_fp8 v[8:11], a[38:39], a[6:7], v[8:11]// 00000000349C: D3F30008 1C220D26
	v_mfma_f32_16x16x32_fp8_fp8 v[12:15], a[40:41], a[0:1], 0  // 0000000034A4: D3F3000C 1A020128
	v_mfma_f32_16x16x32_fp8_fp8 v[12:15], a[42:43], a[2:3], v[12:15]// 0000000034AC: D3F3000C 1C32052A
	buffer_load_dwordx4 a[20:23], v36, s[24:27], 0 offen offset:1024// 0000000034B4: E05C1400 80861424
	v_mfma_f32_16x16x32_fp8_fp8 v[12:15], a[44:45], a[4:5], v[12:15]// 0000000034BC: D3F3000C 1C32092C
	v_mfma_f32_16x16x32_fp8_fp8 v[12:15], a[46:47], a[6:7], v[12:15]// 0000000034C4: D3F3000C 1C320D2E
	v_fma_f32 v40, v8, v4, v40                                 // 0000000034CC: D1CB0028 04A20908
	v_fma_f32 v41, v9, v4, v41                                 // 0000000034D4: D1CB0029 04A60909
	v_fma_f32 v42, v10, v4, v42                                // 0000000034DC: D1CB002A 04AA090A
	v_fma_f32 v43, v11, v4, v43                                // 0000000034E4: D1CB002B 04AE090B
	v_fma_f32 v44, v12, v4, v44                                // 0000000034EC: D1CB002C 04B2090C
	v_fma_f32 v45, v13, v4, v45                                // 0000000034F4: D1CB002D 04B6090D
	v_fma_f32 v46, v14, v4, v46                                // 0000000034FC: D1CB002E 04BA090E
	v_fma_f32 v47, v15, v4, v47                                // 000000003504: D1CB002F 04BE090F
	buffer_load_dwordx4 a[24:27], v37, s[24:27], 0 offen       // 00000000350C: E05C1000 80861825
	buffer_load_dwordx4 a[28:31], v37, s[24:27], 0 offen offset:1024// 000000003514: E05C1400 80861C25
	buffer_load_dword v34, s[20:23], 0 offen lds               // 00000000351C: E0511000 80050022
	s_add_u32 m0, 0x100, s49                                   // 000000003524: 807C31FF 00000100
	buffer_load_dword v35, s[20:23], 0 offen lds               // 00000000352C: E0511000 80050023
	s_add_u32 m0, 0, s50                                       // 000000003534: 807C3280
	buffer_load_dword v32, v30, s[28:31], 0 offen              // 000000003538: E0501000 8007201E
	s_waitcnt vmcnt(8)                                         // 000000003540: BF8C0F78
	s_barrier                                                  // 000000003544: BF8A0000
	v_mul_f32_dpp v4, v29, v33 row_newbcast:0 row_mask:0xf bank_mask:0xf// 000000003548: 0A0842FA FF01501D
	v_mfma_f32_16x16x32_fp8_fp8 v[8:11], a[48:49], a[0:1], 0   // 000000003550: D3F30008 1A020130
	buffer_load_dword v27, v23, s[32:35], 0 offen              // 000000003558: E0501000 80081B17
	s_add_u32 s60, 0x180, s80                                  // 000000003560: 803C50FF 00000180
	s_cmp_lt_u32 s60, s81                                      // 000000003568: BF0A513C
	s_cselect_b32 s57, s57, 0                                  // 00000000356C: 85398039
	s_cselect_b32 s3, s3, 0                                    // 000000003570: 85038003
	v_mfma_f32_16x16x32_fp8_fp8 v[8:11], a[50:51], a[2:3], v[8:11]// 000000003574: D3F30008 1C220532
	buffer_load_dwordx4 a[32:35], v36, s[84:87], 0 offen       // 00000000357C: E05C1000 80952024
	s_add_u32 s60, 0x100, s80                                  // 000000003584: 803C50FF 00000100
	s_cmp_lt_u32 s60, s81                                      // 00000000358C: BF0A513C
	s_cselect_b32 s58, s58, 0                                  // 000000003590: 853A803A
	v_mfma_f32_16x16x32_fp8_fp8 v[8:11], a[52:53], a[4:5], v[8:11]// 000000003594: D3F30008 1C220934
	s_add_u32 s60, 0x100, s80                                  // 00000000359C: 803C50FF 00000100
	s_cmp_lt_u32 s60, s81                                      // 0000000035A4: BF0A513C
	s_cselect_b32 s83, s83, 0                                  // 0000000035A8: 85538053
	s_cselect_b32 s4, s4, 0                                    // 0000000035AC: 85048004
	v_mfma_f32_16x16x32_fp8_fp8 v[8:11], a[54:55], a[6:7], v[8:11]// 0000000035B0: D3F30008 1C220D36
	ds_read_b128 a[8:11], v2                                   // 0000000035B8: DBFE0000 08000002
	ds_read_b128 a[12:15], v2 offset:64                        // 0000000035C0: DBFE0040 0C000002
	s_add_u32 s24, s58, s24                                    // 0000000035C8: 8018183A
	s_addc_u32 s25, 0, s25                                     // 0000000035CC: 82191980
	v_mfma_f32_16x16x32_fp8_fp8 v[12:15], a[56:57], a[0:1], 0  // 0000000035D0: D3F3000C 1A020138
	s_add_u32 s20, s57, s20                                    // 0000000035D8: 80141439
	s_addc_u32 s21, 0, s21                                     // 0000000035DC: 82151580
	s_add_u32 s28, s3, s28                                     // 0000000035E0: 801C1C03
	s_addc_u32 s29, 0, s29                                     // 0000000035E4: 821D1D80
	v_mfma_f32_16x16x32_fp8_fp8 v[12:15], a[58:59], a[2:3], v[12:15]// 0000000035E8: D3F3000C 1C32053A
	buffer_load_dwordx4 a[36:39], v36, s[84:87], 0 offen offset:1024// 0000000035F0: E05C1400 80952424
	v_mfma_f32_16x16x32_fp8_fp8 v[12:15], a[60:61], a[4:5], v[12:15]// 0000000035F8: D3F3000C 1C32093C
	s_add_u32 s32, s4, s32                                     // 000000003600: 80202004
	s_addc_u32 s33, 0, s33                                     // 000000003604: 82212180
	v_mfma_f32_16x16x32_fp8_fp8 v[12:15], a[62:63], a[6:7], v[12:15]// 000000003608: D3F3000C 1C320D3E
	v_fma_f32 v48, v8, v4, v48                                 // 000000003610: D1CB0030 04C20908
	v_fma_f32 v49, v9, v4, v49                                 // 000000003618: D1CB0031 04C60909
	v_fma_f32 v50, v10, v4, v50                                // 000000003620: D1CB0032 04CA090A
	v_fma_f32 v51, v11, v4, v51                                // 000000003628: D1CB0033 04CE090B
	v_fma_f32 v52, v12, v4, v52                                // 000000003630: D1CB0034 04D2090C
	v_fma_f32 v53, v13, v4, v53                                // 000000003638: D1CB0035 04D6090D
	v_fma_f32 v54, v14, v4, v54                                // 000000003640: D1CB0036 04DA090E
	v_fma_f32 v55, v15, v4, v55                                // 000000003648: D1CB0037 04DE090F
	buffer_load_dwordx4 a[40:43], v37, s[84:87], 0 offen       // 000000003650: E05C1000 80952825
	buffer_load_dwordx4 a[44:47], v37, s[84:87], 0 offen offset:1024// 000000003658: E05C1400 80952C25
	s_add_u32 s84, s83, s84                                    // 000000003660: 80545453
	s_addc_u32 s85, 0, s85                                     // 000000003664: 82555580
	s_addk_i32 s80, 0x80                                       // 000000003668: B7500080
	s_cmp_lt_i32 s80, s81                                      // 00000000366C: BF045150
	s_cbranch_scc0 label_04A7                                  // 000000003670: BF84018A
	s_waitcnt vmcnt(8) lgkmcnt(0)                              // 000000003674: BF8C0078
	v_mul_f32_dpp v4, v24, v31 row_newbcast:0 row_mask:0xf bank_mask:0xf// 000000003678: 0A083EFA FF015018
	v_mfma_f32_16x16x32_fp8_fp8 v[8:11], a[16:17], a[8:9], 0   // 000000003680: D3F30008 1A021110
	buffer_load_dword v25, v22, s[32:35], 0 offen              // 000000003688: E0501000 80081916
	v_mfma_f32_16x16x32_fp8_fp8 v[8:11], a[18:19], a[10:11], v[8:11]// 000000003690: D3F30008 1C221512
	buffer_load_dwordx4 a[48:51], v36, s[24:27], 0 offen       // 000000003698: E05C1000 80863024
	v_mfma_f32_16x16x32_fp8_fp8 v[8:11], a[20:21], a[12:13], v[8:11]// 0000000036A0: D3F30008 1C221914
	v_mfma_f32_16x16x32_fp8_fp8 v[8:11], a[22:23], a[14:15], v[8:11]// 0000000036A8: D3F30008 1C221D16
	v_mfma_f32_16x16x32_fp8_fp8 v[12:15], a[24:25], a[8:9], 0  // 0000000036B0: D3F3000C 1A021118
	v_mfma_f32_16x16x32_fp8_fp8 v[12:15], a[26:27], a[10:11], v[12:15]// 0000000036B8: D3F3000C 1C32151A
	buffer_load_dwordx4 a[52:55], v36, s[24:27], 0 offen offset:1024// 0000000036C0: E05C1400 80863424
	v_mfma_f32_16x16x32_fp8_fp8 v[12:15], a[28:29], a[12:13], v[12:15]// 0000000036C8: D3F3000C 1C32191C
	v_mfma_f32_16x16x32_fp8_fp8 v[12:15], a[30:31], a[14:15], v[12:15]// 0000000036D0: D3F3000C 1C321D1E
	v_fma_f32 v40, v8, v4, v40                                 // 0000000036D8: D1CB0028 04A20908
	v_fma_f32 v41, v9, v4, v41                                 // 0000000036E0: D1CB0029 04A60909
	v_fma_f32 v42, v10, v4, v42                                // 0000000036E8: D1CB002A 04AA090A
	v_fma_f32 v43, v11, v4, v43                                // 0000000036F0: D1CB002B 04AE090B
	v_fma_f32 v44, v12, v4, v44                                // 0000000036F8: D1CB002C 04B2090C
	v_fma_f32 v45, v13, v4, v45                                // 000000003700: D1CB002D 04B6090D
	v_fma_f32 v46, v14, v4, v46                                // 000000003708: D1CB002E 04BA090E
	v_fma_f32 v47, v15, v4, v47                                // 000000003710: D1CB002F 04BE090F
	buffer_load_dwordx4 a[56:59], v37, s[24:27], 0 offen       // 000000003718: E05C1000 80863825
	buffer_load_dwordx4 a[60:63], v37, s[24:27], 0 offen offset:1024// 000000003720: E05C1400 80863C25
	buffer_load_dword v34, s[20:23], 0 offen lds               // 000000003728: E0511000 80050022
	s_add_u32 m0, 0x100, s50                                   // 000000003730: 807C32FF 00000100
	buffer_load_dword v35, s[20:23], 0 offen lds               // 000000003738: E0511000 80050023
	s_add_u32 m0, 0, s48                                       // 000000003740: 807C3080
	buffer_load_dword v33, v30, s[28:31], 0 offen              // 000000003744: E0501000 8007211E
	s_waitcnt vmcnt(8)                                         // 00000000374C: BF8C0F78
	s_barrier                                                  // 000000003750: BF8A0000
	v_mul_f32_dpp v4, v27, v31 row_newbcast:0 row_mask:0xf bank_mask:0xf// 000000003754: 0A083EFA FF01501B
	v_mfma_f32_16x16x32_fp8_fp8 v[8:11], a[32:33], a[8:9], 0   // 00000000375C: D3F30008 1A021120
	buffer_load_dword v28, v23, s[32:35], 0 offen              // 000000003764: E0501000 80081C17
	s_add_u32 s60, 0x180, s80                                  // 00000000376C: 803C50FF 00000180
	s_cmp_lt_u32 s60, s81                                      // 000000003774: BF0A513C
	s_cselect_b32 s57, s57, 0                                  // 000000003778: 85398039
	s_cselect_b32 s3, s3, 0                                    // 00000000377C: 85038003
	v_mfma_f32_16x16x32_fp8_fp8 v[8:11], a[34:35], a[10:11], v[8:11]// 000000003780: D3F30008 1C221522
	buffer_load_dwordx4 a[16:19], v36, s[84:87], 0 offen       // 000000003788: E05C1000 80951024
	s_add_u32 s60, 0x100, s80                                  // 000000003790: 803C50FF 00000100
	s_cmp_lt_u32 s60, s81                                      // 000000003798: BF0A513C
	s_cselect_b32 s58, s58, 0                                  // 00000000379C: 853A803A
	v_mfma_f32_16x16x32_fp8_fp8 v[8:11], a[36:37], a[12:13], v[8:11]// 0000000037A0: D3F30008 1C221924
	s_add_u32 s60, 0x100, s80                                  // 0000000037A8: 803C50FF 00000100
	s_cmp_lt_u32 s60, s81                                      // 0000000037B0: BF0A513C
	s_cselect_b32 s83, s83, 0                                  // 0000000037B4: 85538053
	s_cselect_b32 s4, s4, 0                                    // 0000000037B8: 85048004
	v_mfma_f32_16x16x32_fp8_fp8 v[8:11], a[38:39], a[14:15], v[8:11]// 0000000037BC: D3F30008 1C221D26
	ds_read_b128 a[0:3], v2 offset:2176                        // 0000000037C4: DBFE0880 00000002
	ds_read_b128 a[4:7], v2 offset:2240                        // 0000000037CC: DBFE08C0 04000002
	s_add_u32 s24, s58, s24                                    // 0000000037D4: 8018183A
	s_addc_u32 s25, 0, s25                                     // 0000000037D8: 82191980
	v_mfma_f32_16x16x32_fp8_fp8 v[12:15], a[40:41], a[8:9], 0  // 0000000037DC: D3F3000C 1A021128
	s_add_u32 s20, s57, s20                                    // 0000000037E4: 80141439
	s_addc_u32 s21, 0, s21                                     // 0000000037E8: 82151580
	s_add_u32 s28, s3, s28                                     // 0000000037EC: 801C1C03
	s_addc_u32 s29, 0, s29                                     // 0000000037F0: 821D1D80
	v_mfma_f32_16x16x32_fp8_fp8 v[12:15], a[42:43], a[10:11], v[12:15]// 0000000037F4: D3F3000C 1C32152A
	buffer_load_dwordx4 a[20:23], v36, s[84:87], 0 offen offset:1024// 0000000037FC: E05C1400 80951424
	v_mfma_f32_16x16x32_fp8_fp8 v[12:15], a[44:45], a[12:13], v[12:15]// 000000003804: D3F3000C 1C32192C
	s_add_u32 s32, s4, s32                                     // 00000000380C: 80202004
	s_addc_u32 s33, 0, s33                                     // 000000003810: 82212180
	v_mfma_f32_16x16x32_fp8_fp8 v[12:15], a[46:47], a[14:15], v[12:15]// 000000003814: D3F3000C 1C321D2E
	v_fma_f32 v48, v8, v4, v48                                 // 00000000381C: D1CB0030 04C20908
	v_fma_f32 v49, v9, v4, v49                                 // 000000003824: D1CB0031 04C60909
	v_fma_f32 v50, v10, v4, v50                                // 00000000382C: D1CB0032 04CA090A
	v_fma_f32 v51, v11, v4, v51                                // 000000003834: D1CB0033 04CE090B
	v_fma_f32 v52, v12, v4, v52                                // 00000000383C: D1CB0034 04D2090C
	v_fma_f32 v53, v13, v4, v53                                // 000000003844: D1CB0035 04D6090D
	v_fma_f32 v54, v14, v4, v54                                // 00000000384C: D1CB0036 04DA090E
	v_fma_f32 v55, v15, v4, v55                                // 000000003854: D1CB0037 04DE090F
	buffer_load_dwordx4 a[24:27], v37, s[84:87], 0 offen       // 00000000385C: E05C1000 80951825
	buffer_load_dwordx4 a[28:31], v37, s[84:87], 0 offen offset:1024// 000000003864: E05C1400 80951C25
	s_add_u32 s84, s83, s84                                    // 00000000386C: 80545453
	s_addc_u32 s85, 0, s85                                     // 000000003870: 82555580
	s_addk_i32 s80, 0x80                                       // 000000003874: B7500080
	s_cmp_lt_i32 s80, s81                                      // 000000003878: BF045150
	s_cbranch_scc0 label_04A7                                  // 00000000387C: BF840107
	s_waitcnt vmcnt(8) lgkmcnt(0)                              // 000000003880: BF8C0078
	v_mul_f32_dpp v4, v25, v32 row_newbcast:0 row_mask:0xf bank_mask:0xf// 000000003884: 0A0840FA FF015019
	v_mfma_f32_16x16x32_fp8_fp8 v[8:11], a[48:49], a[0:1], 0   // 00000000388C: D3F30008 1A020130
	buffer_load_dword v26, v22, s[32:35], 0 offen              // 000000003894: E0501000 80081A16
	v_mfma_f32_16x16x32_fp8_fp8 v[8:11], a[50:51], a[2:3], v[8:11]// 00000000389C: D3F30008 1C220532
	buffer_load_dwordx4 a[32:35], v36, s[24:27], 0 offen       // 0000000038A4: E05C1000 80862024
	v_mfma_f32_16x16x32_fp8_fp8 v[8:11], a[52:53], a[4:5], v[8:11]// 0000000038AC: D3F30008 1C220934
	v_mfma_f32_16x16x32_fp8_fp8 v[8:11], a[54:55], a[6:7], v[8:11]// 0000000038B4: D3F30008 1C220D36
	v_mfma_f32_16x16x32_fp8_fp8 v[12:15], a[56:57], a[0:1], 0  // 0000000038BC: D3F3000C 1A020138
	v_mfma_f32_16x16x32_fp8_fp8 v[12:15], a[58:59], a[2:3], v[12:15]// 0000000038C4: D3F3000C 1C32053A
	buffer_load_dwordx4 a[36:39], v36, s[24:27], 0 offen offset:1024// 0000000038CC: E05C1400 80862424
	v_mfma_f32_16x16x32_fp8_fp8 v[12:15], a[60:61], a[4:5], v[12:15]// 0000000038D4: D3F3000C 1C32093C
	v_mfma_f32_16x16x32_fp8_fp8 v[12:15], a[62:63], a[6:7], v[12:15]// 0000000038DC: D3F3000C 1C320D3E
	v_fma_f32 v40, v8, v4, v40                                 // 0000000038E4: D1CB0028 04A20908
	v_fma_f32 v41, v9, v4, v41                                 // 0000000038EC: D1CB0029 04A60909
	v_fma_f32 v42, v10, v4, v42                                // 0000000038F4: D1CB002A 04AA090A
	v_fma_f32 v43, v11, v4, v43                                // 0000000038FC: D1CB002B 04AE090B
	v_fma_f32 v44, v12, v4, v44                                // 000000003904: D1CB002C 04B2090C
	v_fma_f32 v45, v13, v4, v45                                // 00000000390C: D1CB002D 04B6090D
	v_fma_f32 v46, v14, v4, v46                                // 000000003914: D1CB002E 04BA090E
	v_fma_f32 v47, v15, v4, v47                                // 00000000391C: D1CB002F 04BE090F
	buffer_load_dwordx4 a[40:43], v37, s[24:27], 0 offen       // 000000003924: E05C1000 80862825
	buffer_load_dwordx4 a[44:47], v37, s[24:27], 0 offen offset:1024// 00000000392C: E05C1400 80862C25
	buffer_load_dword v34, s[20:23], 0 offen lds               // 000000003934: E0511000 80050022
	s_add_u32 m0, 0x100, s48                                   // 00000000393C: 807C30FF 00000100
	buffer_load_dword v35, s[20:23], 0 offen lds               // 000000003944: E0511000 80050023
	s_add_u32 m0, 0, s49                                       // 00000000394C: 807C3180
	buffer_load_dword v31, v30, s[28:31], 0 offen              // 000000003950: E0501000 80071F1E
	s_waitcnt vmcnt(8)                                         // 000000003958: BF8C0F78
	s_barrier                                                  // 00000000395C: BF8A0000
	v_mul_f32_dpp v4, v28, v32 row_newbcast:0 row_mask:0xf bank_mask:0xf// 000000003960: 0A0840FA FF01501C
	v_mfma_f32_16x16x32_fp8_fp8 v[8:11], a[16:17], a[0:1], 0   // 000000003968: D3F30008 1A020110
	buffer_load_dword v29, v23, s[32:35], 0 offen              // 000000003970: E0501000 80081D17
	s_add_u32 s60, 0x180, s80                                  // 000000003978: 803C50FF 00000180
	s_cmp_lt_u32 s60, s81                                      // 000000003980: BF0A513C
	s_cselect_b32 s57, s57, 0                                  // 000000003984: 85398039
	s_cselect_b32 s3, s3, 0                                    // 000000003988: 85038003
	v_mfma_f32_16x16x32_fp8_fp8 v[8:11], a[18:19], a[2:3], v[8:11]// 00000000398C: D3F30008 1C220512
	buffer_load_dwordx4 a[48:51], v36, s[84:87], 0 offen       // 000000003994: E05C1000 80953024
	s_add_u32 s60, 0x100, s80                                  // 00000000399C: 803C50FF 00000100
	s_cmp_lt_u32 s60, s81                                      // 0000000039A4: BF0A513C
	s_cselect_b32 s58, s58, 0                                  // 0000000039A8: 853A803A
	v_mfma_f32_16x16x32_fp8_fp8 v[8:11], a[20:21], a[4:5], v[8:11]// 0000000039AC: D3F30008 1C220914
	s_add_u32 s60, 0x100, s80                                  // 0000000039B4: 803C50FF 00000100
	s_cmp_lt_u32 s60, s81                                      // 0000000039BC: BF0A513C
	s_cselect_b32 s83, s83, 0                                  // 0000000039C0: 85538053
	s_cselect_b32 s4, s4, 0                                    // 0000000039C4: 85048004
	v_mfma_f32_16x16x32_fp8_fp8 v[8:11], a[22:23], a[6:7], v[8:11]// 0000000039C8: D3F30008 1C220D16
	ds_read_b128 a[8:11], v2 offset:4352                       // 0000000039D0: DBFE1100 08000002
	ds_read_b128 a[12:15], v2 offset:4416                      // 0000000039D8: DBFE1140 0C000002
	s_add_u32 s24, s58, s24                                    // 0000000039E0: 8018183A
	s_addc_u32 s25, 0, s25                                     // 0000000039E4: 82191980
	v_mfma_f32_16x16x32_fp8_fp8 v[12:15], a[24:25], a[0:1], 0  // 0000000039E8: D3F3000C 1A020118
	s_add_u32 s20, s57, s20                                    // 0000000039F0: 80141439
	s_addc_u32 s21, 0, s21                                     // 0000000039F4: 82151580
	s_add_u32 s28, s3, s28                                     // 0000000039F8: 801C1C03
	s_addc_u32 s29, 0, s29                                     // 0000000039FC: 821D1D80
	v_mfma_f32_16x16x32_fp8_fp8 v[12:15], a[26:27], a[2:3], v[12:15]// 000000003A00: D3F3000C 1C32051A
	buffer_load_dwordx4 a[52:55], v36, s[84:87], 0 offen offset:1024// 000000003A08: E05C1400 80953424
	v_mfma_f32_16x16x32_fp8_fp8 v[12:15], a[28:29], a[4:5], v[12:15]// 000000003A10: D3F3000C 1C32091C
	s_add_u32 s32, s4, s32                                     // 000000003A18: 80202004
	s_addc_u32 s33, 0, s33                                     // 000000003A1C: 82212180
	v_mfma_f32_16x16x32_fp8_fp8 v[12:15], a[30:31], a[6:7], v[12:15]// 000000003A20: D3F3000C 1C320D1E
	v_fma_f32 v48, v8, v4, v48                                 // 000000003A28: D1CB0030 04C20908
	v_fma_f32 v49, v9, v4, v49                                 // 000000003A30: D1CB0031 04C60909
	v_fma_f32 v50, v10, v4, v50                                // 000000003A38: D1CB0032 04CA090A
	v_fma_f32 v51, v11, v4, v51                                // 000000003A40: D1CB0033 04CE090B
	v_fma_f32 v52, v12, v4, v52                                // 000000003A48: D1CB0034 04D2090C
	v_fma_f32 v53, v13, v4, v53                                // 000000003A50: D1CB0035 04D6090D
	v_fma_f32 v54, v14, v4, v54                                // 000000003A58: D1CB0036 04DA090E
	v_fma_f32 v55, v15, v4, v55                                // 000000003A60: D1CB0037 04DE090F
	buffer_load_dwordx4 a[56:59], v37, s[84:87], 0 offen       // 000000003A68: E05C1000 80953825
	buffer_load_dwordx4 a[60:63], v37, s[84:87], 0 offen offset:1024// 000000003A70: E05C1400 80953C25
	s_add_u32 s84, s83, s84                                    // 000000003A78: 80545453
	s_addc_u32 s85, 0, s85                                     // 000000003A7C: 82555580
	s_addk_i32 s80, 0x80                                       // 000000003A80: B7500080
	s_cmp_lt_i32 s80, s81                                      // 000000003A84: BF045150
	s_cbranch_scc0 label_04A7                                  // 000000003A88: BF840084
	s_waitcnt vmcnt(8) lgkmcnt(0)                              // 000000003A8C: BF8C0078
	v_mul_f32_dpp v4, v26, v33 row_newbcast:0 row_mask:0xf bank_mask:0xf// 000000003A90: 0A0842FA FF01501A
	v_mfma_f32_16x16x32_fp8_fp8 v[8:11], a[32:33], a[8:9], 0   // 000000003A98: D3F30008 1A021120
	buffer_load_dword v24, v22, s[32:35], 0 offen              // 000000003AA0: E0501000 80081816
	v_mfma_f32_16x16x32_fp8_fp8 v[8:11], a[34:35], a[10:11], v[8:11]// 000000003AA8: D3F30008 1C221522
	buffer_load_dwordx4 a[16:19], v36, s[24:27], 0 offen       // 000000003AB0: E05C1000 80861024
	v_mfma_f32_16x16x32_fp8_fp8 v[8:11], a[36:37], a[12:13], v[8:11]// 000000003AB8: D3F30008 1C221924
	v_mfma_f32_16x16x32_fp8_fp8 v[8:11], a[38:39], a[14:15], v[8:11]// 000000003AC0: D3F30008 1C221D26
	v_mfma_f32_16x16x32_fp8_fp8 v[12:15], a[40:41], a[8:9], 0  // 000000003AC8: D3F3000C 1A021128
	v_mfma_f32_16x16x32_fp8_fp8 v[12:15], a[42:43], a[10:11], v[12:15]// 000000003AD0: D3F3000C 1C32152A
	buffer_load_dwordx4 a[20:23], v36, s[24:27], 0 offen offset:1024// 000000003AD8: E05C1400 80861424
	v_mfma_f32_16x16x32_fp8_fp8 v[12:15], a[44:45], a[12:13], v[12:15]// 000000003AE0: D3F3000C 1C32192C
	v_mfma_f32_16x16x32_fp8_fp8 v[12:15], a[46:47], a[14:15], v[12:15]// 000000003AE8: D3F3000C 1C321D2E
	v_fma_f32 v40, v8, v4, v40                                 // 000000003AF0: D1CB0028 04A20908
	v_fma_f32 v41, v9, v4, v41                                 // 000000003AF8: D1CB0029 04A60909
	v_fma_f32 v42, v10, v4, v42                                // 000000003B00: D1CB002A 04AA090A
	v_fma_f32 v43, v11, v4, v43                                // 000000003B08: D1CB002B 04AE090B
	v_fma_f32 v44, v12, v4, v44                                // 000000003B10: D1CB002C 04B2090C
	v_fma_f32 v45, v13, v4, v45                                // 000000003B18: D1CB002D 04B6090D
	v_fma_f32 v46, v14, v4, v46                                // 000000003B20: D1CB002E 04BA090E
	v_fma_f32 v47, v15, v4, v47                                // 000000003B28: D1CB002F 04BE090F
	buffer_load_dwordx4 a[24:27], v37, s[24:27], 0 offen       // 000000003B30: E05C1000 80861825
	buffer_load_dwordx4 a[28:31], v37, s[24:27], 0 offen offset:1024// 000000003B38: E05C1400 80861C25
	buffer_load_dword v34, s[20:23], 0 offen lds               // 000000003B40: E0511000 80050022
	s_add_u32 m0, 0x100, s49                                   // 000000003B48: 807C31FF 00000100
	buffer_load_dword v35, s[20:23], 0 offen lds               // 000000003B50: E0511000 80050023
	s_add_u32 m0, 0, s50                                       // 000000003B58: 807C3280
	buffer_load_dword v32, v30, s[28:31], 0 offen              // 000000003B5C: E0501000 8007201E
	s_waitcnt vmcnt(8)                                         // 000000003B64: BF8C0F78
	s_barrier                                                  // 000000003B68: BF8A0000
	v_mul_f32_dpp v4, v29, v33 row_newbcast:0 row_mask:0xf bank_mask:0xf// 000000003B6C: 0A0842FA FF01501D
	v_mfma_f32_16x16x32_fp8_fp8 v[8:11], a[48:49], a[8:9], 0   // 000000003B74: D3F30008 1A021130
	buffer_load_dword v27, v23, s[32:35], 0 offen              // 000000003B7C: E0501000 80081B17
	s_add_u32 s60, 0x180, s80                                  // 000000003B84: 803C50FF 00000180
	s_cmp_lt_u32 s60, s81                                      // 000000003B8C: BF0A513C
	s_cselect_b32 s57, s57, 0                                  // 000000003B90: 85398039
	s_cselect_b32 s3, s3, 0                                    // 000000003B94: 85038003
	v_mfma_f32_16x16x32_fp8_fp8 v[8:11], a[50:51], a[10:11], v[8:11]// 000000003B98: D3F30008 1C221532
	buffer_load_dwordx4 a[32:35], v36, s[84:87], 0 offen       // 000000003BA0: E05C1000 80952024
	s_add_u32 s60, 0x100, s80                                  // 000000003BA8: 803C50FF 00000100
	s_cmp_lt_u32 s60, s81                                      // 000000003BB0: BF0A513C
	s_cselect_b32 s58, s58, 0                                  // 000000003BB4: 853A803A
	v_mfma_f32_16x16x32_fp8_fp8 v[8:11], a[52:53], a[12:13], v[8:11]// 000000003BB8: D3F30008 1C221934
	s_add_u32 s60, 0x100, s80                                  // 000000003BC0: 803C50FF 00000100
	s_cmp_lt_u32 s60, s81                                      // 000000003BC8: BF0A513C
	s_cselect_b32 s83, s83, 0                                  // 000000003BCC: 85538053
	s_cselect_b32 s4, s4, 0                                    // 000000003BD0: 85048004
	v_mfma_f32_16x16x32_fp8_fp8 v[8:11], a[54:55], a[14:15], v[8:11]// 000000003BD4: D3F30008 1C221D36
	ds_read_b128 a[0:3], v2                                    // 000000003BDC: DBFE0000 00000002
	ds_read_b128 a[4:7], v2 offset:64                          // 000000003BE4: DBFE0040 04000002
	s_add_u32 s24, s58, s24                                    // 000000003BEC: 8018183A
	s_addc_u32 s25, 0, s25                                     // 000000003BF0: 82191980
	v_mfma_f32_16x16x32_fp8_fp8 v[12:15], a[56:57], a[8:9], 0  // 000000003BF4: D3F3000C 1A021138
	s_add_u32 s20, s57, s20                                    // 000000003BFC: 80141439
	s_addc_u32 s21, 0, s21                                     // 000000003C00: 82151580
	s_add_u32 s28, s3, s28                                     // 000000003C04: 801C1C03
	s_addc_u32 s29, 0, s29                                     // 000000003C08: 821D1D80
	v_mfma_f32_16x16x32_fp8_fp8 v[12:15], a[58:59], a[10:11], v[12:15]// 000000003C0C: D3F3000C 1C32153A
	buffer_load_dwordx4 a[36:39], v36, s[84:87], 0 offen offset:1024// 000000003C14: E05C1400 80952424
	v_mfma_f32_16x16x32_fp8_fp8 v[12:15], a[60:61], a[12:13], v[12:15]// 000000003C1C: D3F3000C 1C32193C
	s_add_u32 s32, s4, s32                                     // 000000003C24: 80202004
	s_addc_u32 s33, 0, s33                                     // 000000003C28: 82212180
	v_mfma_f32_16x16x32_fp8_fp8 v[12:15], a[62:63], a[14:15], v[12:15]// 000000003C2C: D3F3000C 1C321D3E
	v_fma_f32 v48, v8, v4, v48                                 // 000000003C34: D1CB0030 04C20908
	v_fma_f32 v49, v9, v4, v49                                 // 000000003C3C: D1CB0031 04C60909
	v_fma_f32 v50, v10, v4, v50                                // 000000003C44: D1CB0032 04CA090A
	v_fma_f32 v51, v11, v4, v51                                // 000000003C4C: D1CB0033 04CE090B
	v_fma_f32 v52, v12, v4, v52                                // 000000003C54: D1CB0034 04D2090C
	v_fma_f32 v53, v13, v4, v53                                // 000000003C5C: D1CB0035 04D6090D
	v_fma_f32 v54, v14, v4, v54                                // 000000003C64: D1CB0036 04DA090E
	v_fma_f32 v55, v15, v4, v55                                // 000000003C6C: D1CB0037 04DE090F
	buffer_load_dwordx4 a[40:43], v37, s[84:87], 0 offen       // 000000003C74: E05C1000 80952825
	buffer_load_dwordx4 a[44:47], v37, s[84:87], 0 offen offset:1024// 000000003C7C: E05C1400 80952C25
	s_add_u32 s84, s83, s84                                    // 000000003C84: 80545453
	s_addc_u32 s85, 0, s85                                     // 000000003C88: 82555580
	s_addk_i32 s80, 0x80                                       // 000000003C8C: B7500080
	s_cmp_lt_i32 s80, s81                                      // 000000003C90: BF045150
	s_cbranch_scc0 label_04A7                                  // 000000003C94: BF840001
	s_branch label_0194                                        // 000000003C98: BF82FCED

0000000000003c9c <label_04A7>:
	s_cmp_eq_u32 s88, 0                                        // 000000003C9C: BF068058
	s_cbranch_scc0 label_0641                                  // 000000003CA0: BF840198
	s_cmp_eq_u32 s89, 0                                        // 000000003CA4: BF068059
	s_cbranch_scc1 label_0500                                  // 000000003CA8: BF850055
	v_mov_b32_e32 v8, v1                                       // 000000003CAC: 7E100301
	v_mov_b32_e32 v9, v1                                       // 000000003CB0: 7E120301
	s_mov_b32 s60, s6                                          // 000000003CB4: BEBC0006
	s_mov_b32 s61, s6                                          // 000000003CB8: BEBD0006
	v_pk_mul_f32 v[4:5], v[40:41], v[40:41]                    // 000000003CBC: D3B14004 18025128
	v_pk_mul_f32 v[6:7], v[42:43], v[42:43]                    // 000000003CC4: D3B14006 1802552A
	v_pk_fma_f32 v[4:5], v[4:5], s[78:79], v[8:9]              // 000000003CCC: D3B04004 1C209D04
	v_pk_fma_f32 v[6:7], v[6:7], s[78:79], v[8:9]              // 000000003CD4: D3B04006 1C209D06
	v_pk_mul_f32 v[4:5], v[4:5], v[40:41]                      // 000000003CDC: D3B14004 18025104
	v_pk_mul_f32 v[6:7], v[6:7], v[42:43]                      // 000000003CE4: D3B14006 18025506
	v_pk_mul_f32 v[4:5], v[4:5], s[60:61]                      // 000000003CEC: D3B14004 18007904
	v_pk_mul_f32 v[6:7], v[6:7], s[60:61]                      // 000000003CF4: D3B14006 18007906
	v_exp_f32_e32 v4, v4                                       // 000000003CFC: 7E084104
	v_exp_f32_e32 v5, v5                                       // 000000003D00: 7E0A4105
	v_exp_f32_e32 v6, v6                                       // 000000003D04: 7E0C4106
	v_exp_f32_e32 v7, v7                                       // 000000003D08: 7E0E4107
	v_add_f32_e64 v4, v4, 1.0                                  // 000000003D0C: D1010004 0001E504
	v_add_f32_e64 v5, v5, 1.0                                  // 000000003D14: D1010005 0001E505
	v_add_f32_e64 v6, v6, 1.0                                  // 000000003D1C: D1010006 0001E506
	v_add_f32_e64 v7, v7, 1.0                                  // 000000003D24: D1010007 0001E507
	v_rcp_f32_e32 v4, v4                                       // 000000003D2C: 7E084504
	v_rcp_f32_e32 v5, v5                                       // 000000003D30: 7E0A4505
	v_rcp_f32_e32 v6, v6                                       // 000000003D34: 7E0C4506
	v_rcp_f32_e32 v7, v7                                       // 000000003D38: 7E0E4507
	v_mul_f32_e32 v40, v40, v4                                 // 000000003D3C: 0A500928
	v_mul_f32_e32 v41, v41, v5                                 // 000000003D40: 0A520B29
	v_mul_f32_e32 v42, v42, v6                                 // 000000003D44: 0A540D2A
	v_mul_f32_e32 v43, v43, v7                                 // 000000003D48: 0A560F2B
	v_mul_f32_e32 v40, v40, v48                                // 000000003D4C: 0A506128
	v_mul_f32_e32 v41, v41, v49                                // 000000003D50: 0A526329
	v_mul_f32_e32 v42, v42, v50                                // 000000003D54: 0A54652A
	v_mul_f32_e32 v43, v43, v51                                // 000000003D58: 0A56672B
	v_pk_mul_f32 v[4:5], v[44:45], v[44:45]                    // 000000003D5C: D3B14004 1802592C
	v_pk_mul_f32 v[6:7], v[46:47], v[46:47]                    // 000000003D64: D3B14006 18025D2E
	v_pk_fma_f32 v[4:5], v[4:5], s[78:79], v[8:9]              // 000000003D6C: D3B04004 1C209D04
	v_pk_fma_f32 v[6:7], v[6:7], s[78:79], v[8:9]              // 000000003D74: D3B04006 1C209D06
	v_pk_mul_f32 v[4:5], v[4:5], v[44:45]                      // 000000003D7C: D3B14004 18025904
	v_pk_mul_f32 v[6:7], v[6:7], v[46:47]                      // 000000003D84: D3B14006 18025D06
	v_pk_mul_f32 v[4:5], v[4:5], s[60:61]                      // 000000003D8C: D3B14004 18007904
	v_pk_mul_f32 v[6:7], v[6:7], s[60:61]                      // 000000003D94: D3B14006 18007906
	v_exp_f32_e32 v4, v4                                       // 000000003D9C: 7E084104
	v_exp_f32_e32 v5, v5                                       // 000000003DA0: 7E0A4105
	v_exp_f32_e32 v6, v6                                       // 000000003DA4: 7E0C4106
	v_exp_f32_e32 v7, v7                                       // 000000003DA8: 7E0E4107
	v_add_f32_e64 v4, v4, 1.0                                  // 000000003DAC: D1010004 0001E504
	v_add_f32_e64 v5, v5, 1.0                                  // 000000003DB4: D1010005 0001E505
	v_add_f32_e64 v6, v6, 1.0                                  // 000000003DBC: D1010006 0001E506
	v_add_f32_e64 v7, v7, 1.0                                  // 000000003DC4: D1010007 0001E507
	v_rcp_f32_e32 v4, v4                                       // 000000003DCC: 7E084504
	v_rcp_f32_e32 v5, v5                                       // 000000003DD0: 7E0A4505
	v_rcp_f32_e32 v6, v6                                       // 000000003DD4: 7E0C4506
	v_rcp_f32_e32 v7, v7                                       // 000000003DD8: 7E0E4507
	v_mul_f32_e32 v44, v44, v4                                 // 000000003DDC: 0A58092C
	v_mul_f32_e32 v45, v45, v5                                 // 000000003DE0: 0A5A0B2D
	v_mul_f32_e32 v46, v46, v6                                 // 000000003DE4: 0A5C0D2E
	v_mul_f32_e32 v47, v47, v7                                 // 000000003DE8: 0A5E0F2F
	v_mul_f32_e32 v44, v44, v52                                // 000000003DEC: 0A58692C
	v_mul_f32_e32 v45, v45, v53                                // 000000003DF0: 0A5A6B2D
	v_mul_f32_e32 v46, v46, v54                                // 000000003DF4: 0A5C6D2E
	v_mul_f32_e32 v47, v47, v55                                // 000000003DF8: 0A5E6F2F
	s_branch label_0540                                        // 000000003DFC: BF820040

0000000000003e00 <label_0500>:
	v_mul_f32_e64 v4, -v40, s6                                 // 000000003E00: D1050004 20000D28
	v_mul_f32_e64 v5, -v41, s6                                 // 000000003E08: D1050005 20000D29
	v_mul_f32_e64 v6, -v42, s6                                 // 000000003E10: D1050006 20000D2A
	v_mul_f32_e64 v7, -v43, s6                                 // 000000003E18: D1050007 20000D2B
	v_exp_f32_e32 v4, v4                                       // 000000003E20: 7E084104
	v_exp_f32_e32 v5, v5                                       // 000000003E24: 7E0A4105
	v_exp_f32_e32 v6, v6                                       // 000000003E28: 7E0C4106
	v_exp_f32_e32 v7, v7                                       // 000000003E2C: 7E0E4107
	v_add_f32_e64 v4, v4, 1.0                                  // 000000003E30: D1010004 0001E504
	v_add_f32_e64 v5, v5, 1.0                                  // 000000003E38: D1010005 0001E505
	v_add_f32_e64 v6, v6, 1.0                                  // 000000003E40: D1010006 0001E506
	v_add_f32_e64 v7, v7, 1.0                                  // 000000003E48: D1010007 0001E507
	v_rcp_f32_e32 v4, v4                                       // 000000003E50: 7E084504
	v_rcp_f32_e32 v5, v5                                       // 000000003E54: 7E0A4505
	v_rcp_f32_e32 v6, v6                                       // 000000003E58: 7E0C4506
	v_rcp_f32_e32 v7, v7                                       // 000000003E5C: 7E0E4507
	v_mul_f32_e32 v40, v40, v4                                 // 000000003E60: 0A500928
	v_mul_f32_e32 v41, v41, v5                                 // 000000003E64: 0A520B29
	v_mul_f32_e32 v42, v42, v6                                 // 000000003E68: 0A540D2A
	v_mul_f32_e32 v43, v43, v7                                 // 000000003E6C: 0A560F2B
	v_mul_f32_e32 v40, v40, v48                                // 000000003E70: 0A506128
	v_mul_f32_e32 v41, v41, v49                                // 000000003E74: 0A526329
	v_mul_f32_e32 v42, v42, v50                                // 000000003E78: 0A54652A
	v_mul_f32_e32 v43, v43, v51                                // 000000003E7C: 0A56672B
	v_mul_f32_e64 v4, -v44, s6                                 // 000000003E80: D1050004 20000D2C
	v_mul_f32_e64 v5, -v45, s6                                 // 000000003E88: D1050005 20000D2D
	v_mul_f32_e64 v6, -v46, s6                                 // 000000003E90: D1050006 20000D2E
	v_mul_f32_e64 v7, -v47, s6                                 // 000000003E98: D1050007 20000D2F
	v_exp_f32_e32 v4, v4                                       // 000000003EA0: 7E084104
	v_exp_f32_e32 v5, v5                                       // 000000003EA4: 7E0A4105
	v_exp_f32_e32 v6, v6                                       // 000000003EA8: 7E0C4106
	v_exp_f32_e32 v7, v7                                       // 000000003EAC: 7E0E4107
	v_add_f32_e64 v4, v4, 1.0                                  // 000000003EB0: D1010004 0001E504
	v_add_f32_e64 v5, v5, 1.0                                  // 000000003EB8: D1010005 0001E505
	v_add_f32_e64 v6, v6, 1.0                                  // 000000003EC0: D1010006 0001E506
	v_add_f32_e64 v7, v7, 1.0                                  // 000000003EC8: D1010007 0001E507
	v_rcp_f32_e32 v4, v4                                       // 000000003ED0: 7E084504
	v_rcp_f32_e32 v5, v5                                       // 000000003ED4: 7E0A4505
	v_rcp_f32_e32 v6, v6                                       // 000000003ED8: 7E0C4506
	v_rcp_f32_e32 v7, v7                                       // 000000003EDC: 7E0E4507
	v_mul_f32_e32 v44, v44, v4                                 // 000000003EE0: 0A58092C
	v_mul_f32_e32 v45, v45, v5                                 // 000000003EE4: 0A5A0B2D
	v_mul_f32_e32 v46, v46, v6                                 // 000000003EE8: 0A5C0D2E
	v_mul_f32_e32 v47, v47, v7                                 // 000000003EEC: 0A5E0F2F
	v_mul_f32_e32 v44, v44, v52                                // 000000003EF0: 0A58692C
	v_mul_f32_e32 v45, v45, v53                                // 000000003EF4: 0A5A6B2D
	v_mul_f32_e32 v46, v46, v54                                // 000000003EF8: 0A5C6D2E
	v_mul_f32_e32 v47, v47, v55                                // 000000003EFC: 0A5E6F2F

0000000000003f00 <label_0540>:
	s_cmp_eq_u32 s7, 0                                         // 000000003F00: BF068007
	s_cbranch_scc0 label_0547                                  // 000000003F04: BF840005
	v_and_b32_e32 v4, 15, v0                                   // 000000003F08: 2608008F
	v_lshlrev_b32_e32 v4, 2, v4                                // 000000003F0C: 24080882
	buffer_load_dword v30, v4, s[12:15], 0 offen               // 000000003F10: E0501000 80031E04
	v_add_u32_e32 v4, 64, v4                                   // 000000003F18: 680808C0

0000000000003f1c <label_0547>:
	v_lshlrev_b32_e32 v4, 2, v0                                // 000000003F1C: 24080082
	s_mul_i32 s60, 0x100, s7                                   // 000000003F20: 923C07FF 00000100
	v_add_u32_e32 v49, s60, v4                                 // 000000003F28: 6862083C
	v_and_b32_e32 v4, 15, v0                                   // 000000003F2C: 2608008F
	v_lshlrev_b32_e32 v50, 2, v4                               // 000000003F30: 24640882
	s_waitcnt lgkmcnt(0)                                       // 000000003F34: BF8CC07F
	s_barrier                                                  // 000000003F38: BF8A0000
	v_mov_b32_e32 v48, 0x358637bd                              // 000000003F3C: 7E6002FF 358637BD
	v_max3_f32 v48, |v40|, |v41|, v48                          // 000000003F44: D1D30330 04C25328
	v_max3_f32 v48, |v42|, |v43|, v48                          // 000000003F4C: D1D30330 04C2572A
	v_max3_f32 v48, |v44|, |v45|, v48                          // 000000003F54: D1D30330 04C25B2C
	v_max3_f32 v48, |v46|, |v47|, v48                          // 000000003F5C: D1D30330 04C25F2E
	ds_write_b32 v49, v48                                      // 000000003F64: D81A0000 00003031
	s_waitcnt lgkmcnt(0)                                       // 000000003F6C: BF8CC07F
	s_barrier                                                  // 000000003F70: BF8A0000
	ds_read_b32 v4, v50                                        // 000000003F74: D86C0000 04000032
	ds_read_b32 v5, v50 offset:64                              // 000000003F7C: D86C0040 05000032
	ds_read_b32 v6, v50 offset:128                             // 000000003F84: D86C0080 06000032
	ds_read_b32 v7, v50 offset:192                             // 000000003F8C: D86C00C0 07000032
	ds_read_b32 v8, v50 offset:256                             // 000000003F94: D86C0100 08000032
	ds_read_b32 v9, v50 offset:320                             // 000000003F9C: D86C0140 09000032
	ds_read_b32 v10, v50 offset:384                            // 000000003FA4: D86C0180 0A000032
	ds_read_b32 v11, v50 offset:448                            // 000000003FAC: D86C01C0 0B000032
	ds_read_b32 v12, v50 offset:512                            // 000000003FB4: D86C0200 0C000032
	ds_read_b32 v13, v50 offset:576                            // 000000003FBC: D86C0240 0D000032
	ds_read_b32 v14, v50 offset:640                            // 000000003FC4: D86C0280 0E000032
	ds_read_b32 v15, v50 offset:704                            // 000000003FCC: D86C02C0 0F000032
	ds_read_b32 v16, v50 offset:768                            // 000000003FD4: D86C0300 10000032
	ds_read_b32 v17, v50 offset:832                            // 000000003FDC: D86C0340 11000032
	ds_read_b32 v18, v50 offset:896                            // 000000003FE4: D86C0380 12000032
	ds_read_b32 v19, v50 offset:960                            // 000000003FEC: D86C03C0 13000032
	s_waitcnt lgkmcnt(0)                                       // 000000003FF4: BF8CC07F
	s_barrier                                                  // 000000003FF8: BF8A0000
	v_max3_f32 v48, |v4|, |v5|, v48                            // 000000003FFC: D1D30330 04C20B04
	v_max3_f32 v48, |v6|, |v7|, v48                            // 000000004004: D1D30330 04C20F06
	v_max3_f32 v48, |v8|, |v9|, v48                            // 00000000400C: D1D30330 04C21308
	v_max3_f32 v48, |v10|, |v11|, v48                          // 000000004014: D1D30330 04C2170A
	v_max3_f32 v48, |v12|, |v13|, v48                          // 00000000401C: D1D30330 04C21B0C
	v_max3_f32 v48, |v14|, |v15|, v48                          // 000000004024: D1D30330 04C21F0E
	v_max3_f32 v48, |v16|, |v17|, v48                          // 00000000402C: D1D30330 04C22310
	v_max3_f32 v48, |v18|, |v19|, v48                          // 000000004034: D1D30330 04C22712
	v_rcp_f32_e32 v48, v48                                     // 00000000403C: 7E604530
	v_mov_b32_e32 v4, 0x43700000                               // 000000004040: 7E0802FF 43700000
	v_mul_f32_e32 v48, v4, v48                                 // 000000004048: 0A606104
	v_mov_b32_e32 v4, v48                                      // 00000000404C: 7E080330
	v_mov_b32_e32 v5, v4                                       // 000000004050: 7E0A0304
	v_pk_mul_f32 v[40:41], v[4:5], v[40:41]                    // 000000004054: D3B14028 18025104
	v_pk_mul_f32 v[42:43], v[4:5], v[42:43]                    // 00000000405C: D3B1402A 18025504
	v_cvt_pk_fp8_f32 v40, v40, v41                             // 000000004064: D2A20028 00025328
	v_cvt_pk_fp8_f32 v40, v42, v43 op_sel:[0,0,1]              // 00000000406C: D2A24028 0002572A
	v_pk_mul_f32 v[44:45], v[4:5], v[44:45]                    // 000000004074: D3B1402C 18025904
	v_pk_mul_f32 v[46:47], v[4:5], v[46:47]                    // 00000000407C: D3B1402E 18025D04
	v_cvt_pk_fp8_f32 v44, v44, v45                             // 000000004084: D2A2002C 00025B2C
	v_cvt_pk_fp8_f32 v44, v46, v47 op_sel:[0,0,1]              // 00000000408C: D2A2402C 00025F2E
	v_rcp_f32_e32 v48, v48                                     // 000000004094: 7E604530
	v_lshrrev_b32_e32 v4, 5, v0                                // 000000004098: 20080085
	v_mul_lo_u32 v20, 34, v4                                   // 00000000409C: D2850014 000208A2
	v_and_b32_e32 v4, 31, v0                                   // 0000000040A4: 2608009F
	v_lshrrev_b32_e32 v5, 4, v4                                // 0000000040A8: 200A0884
	v_add_u32_e32 v20, v5, v20                                 // 0000000040AC: 68282905
	v_and_b32_e32 v4, 15, v0                                   // 0000000040B0: 2608008F
	v_mul_lo_u32 v5, 2, v4                                     // 0000000040B4: D2850005 00020882
	v_add_u32_e32 v20, v5, v20                                 // 0000000040BC: 68282905
	s_mul_i32 s60, s7, 0x44                                    // 0000000040C0: 923CFF07 00000044
	v_add_u32_e32 v20, s60, v20                                // 0000000040C8: 6828283C
	v_lshlrev_b32_e32 v20, 2, v20                              // 0000000040CC: 24282882
	ds_write_b32 v20, v40                                      // 0000000040D0: D81A0000 00002814
	ds_write_b32 v20, v44 offset:1088                          // 0000000040D8: D81A0440 00002C14
	v_lshrrev_b32_e32 v4, 5, v0                                // 0000000040E0: 20080085
	v_xor_b32_e32 v5, 1, v4                                    // 0000000040E4: 2A0A0881
	s_mul_i32 s60, s65, 1                                      // 0000000040E8: 923C8141
	s_cmp_eq_u32 s88, 0                                        // 0000000040EC: BF068058
	s_cselect_b32 s61, 1, 8                                    // 0000000040F0: 853D8881
	s_mul_i32 s60, s61, s60                                    // 0000000040F4: 923C3C3D
	v_readlane_b32 s82, v3, 0                                  // 0000000040F8: D2890052 00010103
	s_lshr_b32 s61, s82, 24                                    // 000000004100: 8F3D9852
	s_and_b32 s82, s82, 0xffffff                               // 000000004104: 8652FF52 00FFFFFF
	s_mul_i32 s82, s82, s71                                    // 00000000410C: 92524752
	s_mul_i32 s61, s60, s61                                    // 000000004110: 923D3D3C
	s_add_u32 s82, s82, s61                                    // 000000004114: 80523D52
	v_mul_lo_u32 v6, v5, s82                                   // 000000004118: D2850006 0000A505
	v_readlane_b32 s82, v3, 1                                  // 000000004120: D2890052 00010303
	s_lshr_b32 s61, s82, 24                                    // 000000004128: 8F3D9852
	s_and_b32 s82, s82, 0xffffff                               // 00000000412C: 8652FF52 00FFFFFF
	s_mul_i32 s82, s82, s71                                    // 000000004134: 92524752
	s_mul_i32 s61, s60, s61                                    // 000000004138: 923D3D3C
	s_add_u32 s82, s82, s61                                    // 00000000413C: 80523D52
	v_mul_lo_u32 v7, v4, s82                                   // 000000004140: D2850007 0000A504
	v_add_u32_e32 v34, v6, v7                                  // 000000004148: 68440F06
	v_readlane_b32 s82, v3, 2                                  // 00000000414C: D2890052 00010503
	s_lshr_b32 s61, s82, 24                                    // 000000004154: 8F3D9852
	s_and_b32 s82, s82, 0xffffff                               // 000000004158: 8652FF52 00FFFFFF
	s_mul_i32 s82, s82, s71                                    // 000000004160: 92524752
	s_mul_i32 s61, s60, s61                                    // 000000004164: 923D3D3C
	s_add_u32 s82, s82, s61                                    // 000000004168: 80523D52
	v_mul_lo_u32 v6, v5, s82                                   // 00000000416C: D2850006 0000A505
	v_readlane_b32 s82, v3, 3                                  // 000000004174: D2890052 00010703
	s_lshr_b32 s61, s82, 24                                    // 00000000417C: 8F3D9852
	s_and_b32 s82, s82, 0xffffff                               // 000000004180: 8652FF52 00FFFFFF
	s_mul_i32 s82, s82, s71                                    // 000000004188: 92524752
	s_mul_i32 s61, s60, s61                                    // 00000000418C: 923D3D3C
	s_add_u32 s82, s82, s61                                    // 000000004190: 80523D52
	v_mul_lo_u32 v7, v4, s82                                   // 000000004194: D2850007 0000A504
	v_add_u32_e32 v35, v6, v7                                  // 00000000419C: 68460F06
	v_and_b32_e32 v4, 31, v0                                   // 0000000041A0: 2608009F
	v_lshrrev_b32_e32 v4, 1, v4                                // 0000000041A4: 20080881
	s_cmp_eq_u32 s88, 0                                        // 0000000041A8: BF068058
	s_cselect_b32 s61, 2, 4                                    // 0000000041AC: 853D8482
	v_mul_lo_u32 v4, v4, s61                                   // 0000000041B0: D2850004 00007B04
	v_and_b32_e64 v5, v0, 1                                    // 0000000041B8: D1130005 00010300
	v_add_u32_e32 v4, v4, v5                                   // 0000000041C0: 68080B04
	v_lshlrev_b32_e32 v4, 2, v4                                // 0000000041C4: 24080882
	v_add_u32_e32 v34, v34, v4                                 // 0000000041C8: 68440922
	v_add_u32_e32 v35, v35, v4                                 // 0000000041CC: 68460923
	s_waitcnt lgkmcnt(0)                                       // 0000000041D0: BF8CC07F
	s_barrier                                                  // 0000000041D4: BF8A0000
	ds_read_b32 v40, v21                                       // 0000000041D8: D86C0000 28000015
	ds_read_b32 v41, v21 offset:64                             // 0000000041E0: D86C0040 29000015
	s_waitcnt lgkmcnt(0)                                       // 0000000041E8: BF8CC07F
	s_mov_b32 s36, -1                                          // 0000000041EC: BEA400C1
	s_mov_b32 s37, -1                                          // 0000000041F0: BEA500C1
	v_mov_b32_e32 v7, 0                                        // 0000000041F4: 7E0E0280
	s_or_b32 s9, s9, 0x40000                                   // 0000000041F8: 8709FF09 00040000
	s_mov_b64 exec, s[36:37]                                   // 000000004200: BEFE0124
	v_mov_b32_e32 v6, v34                                      // 000000004204: 7E0C0322
	s_mov_b64 s[60:61], 0                                      // 000000004208: BEBC0180
	v_readlane_b32 s82, v3, 0                                  // 00000000420C: D2890052 00010103
	s_and_b32 s82, s82, 0xffffff                               // 000000004214: 8652FF52 00FFFFFF
	s_cmp_lt_u32 s82, s66                                      // 00000000421C: BF0A4252
	s_cselect_b32 s20, s36, s60                                // 000000004220: 85143C24
	v_readlane_b32 s82, v3, 1                                  // 000000004224: D2890052 00010303
	s_and_b32 s82, s82, 0xffffff                               // 00000000422C: 8652FF52 00FFFFFF
	s_cmp_lt_u32 s82, s66                                      // 000000004234: BF0A4252
	s_cselect_b32 s21, s36, s60                                // 000000004238: 85153C24
	s_mov_b64 exec, s[20:21]                                   // 00000000423C: BEFE0114
	buffer_store_dword v40, v6, s[8:11], 0 offen               // 000000004240: E0701000 80022806
	s_mov_b64 exec, s[36:37]                                   // 000000004248: BEFE0124
	v_mov_b32_e32 v6, v35                                      // 00000000424C: 7E0C0323
	s_mov_b64 s[60:61], 0                                      // 000000004250: BEBC0180
	v_readlane_b32 s82, v3, 2                                  // 000000004254: D2890052 00010503
	s_and_b32 s82, s82, 0xffffff                               // 00000000425C: 8652FF52 00FFFFFF
	s_cmp_lt_u32 s82, s66                                      // 000000004264: BF0A4252
	s_cselect_b32 s20, s36, s60                                // 000000004268: 85143C24
	v_readlane_b32 s82, v3, 3                                  // 00000000426C: D2890052 00010703
	s_and_b32 s82, s82, 0xffffff                               // 000000004274: 8652FF52 00FFFFFF
	s_cmp_lt_u32 s82, s66                                      // 00000000427C: BF0A4252
	s_cselect_b32 s21, s36, s60                                // 000000004280: 85153C24
	s_mov_b64 exec, s[20:21]                                   // 000000004284: BEFE0114
	buffer_store_dword v41, v6, s[8:11], 0 offen               // 000000004288: E0701000 80022906
	s_mov_b64 exec, s[36:37]                                   // 000000004290: BEFE0124
	s_cmp_eq_u32 s7, 0                                         // 000000004294: BF068007
	s_cbranch_scc0 label_0D3D                                  // 000000004298: BF840713
	s_waitcnt vmcnt(2)                                         // 00000000429C: BF8C0F72
	s_mov_b32 s8, s90                                          // 0000000042A0: BE88005A
	s_mov_b32 s9, s91                                          // 0000000042A4: BE89005B
	s_mul_i32 s60, s66, s71                                    // 0000000042A8: 923C4742
	s_add_u32 s8, s60, s8                                      // 0000000042AC: 8008083C
	s_addc_u32 s9, 0, s9                                       // 0000000042B0: 82090980
	s_lshr_b32 s71, s71, 5                                     // 0000000042B4: 8F478547
	s_mul_i32 s60, s66, s71                                    // 0000000042B8: 923C4742
	s_mov_b32 s10, s60                                         // 0000000042BC: BE8A003C
	s_lshr_b32 s61, s65, 5                                     // 0000000042C0: 8F3D8541
	s_mul_i32 s60, s2, 4                                       // 0000000042C4: 923C8402
	v_lshrrev_b32_e32 v4, 24, v30                              // 0000000042C8: 20083C98
	v_mul_lo_u32 v4, s61, v4                                   // 0000000042CC: D2850004 0002083D
	v_and_b32_e32 v30, 0xffffff, v30                           // 0000000042D4: 263C3CFF 00FFFFFF
	v_mul_lo_u32 v30, s71, v30                                 // 0000000042DC: D285001E 00023C47
	v_add_u32_e32 v30, v4, v30                                 // 0000000042E4: 683C3D04
	v_add_u32_e32 v30, s60, v30                                // 0000000042E8: 683C3C3C
	s_mov_b64 exec, 0xffff                                     // 0000000042EC: BEFE01FF 0000FFFF
	buffer_store_dword v48, v30, s[8:11], 0 offen              // 0000000042F4: E0701000 8002301E
	s_mov_b64 exec, s[36:37]                                   // 0000000042FC: BEFE0124
	s_branch label_0D3D                                        // 000000004300: BF8206F9

0000000000004304 <label_0641>:
	ds_write_b64 v20, v[40:41]                                 // 000000004304: D89A0000 00002814
	ds_write_b64 v20, v[44:45] offset:2176                     // 00000000430C: D89A0880 00002C14
	v_lshrrev_b32_e32 v4, 5, v0                                // 000000004314: 20080085
	v_xor_b32_e32 v5, 1, v4                                    // 000000004318: 2A0A0881
	s_mul_i32 s60, s65, 1                                      // 00000000431C: 923C8141
	s_cmp_eq_u32 s88, 0                                        // 000000004320: BF068058
	s_cselect_b32 s61, 1, 8                                    // 000000004324: 853D8881
	s_mul_i32 s60, s61, s60                                    // 000000004328: 923C3C3D
	v_readlane_b32 s82, v3, 0                                  // 00000000432C: D2890052 00010103
	s_lshr_b32 s61, s82, 24                                    // 000000004334: 8F3D9852
	s_and_b32 s82, s82, 0xffffff                               // 000000004338: 8652FF52 00FFFFFF
	s_mul_i32 s82, s82, s71                                    // 000000004340: 92524752
	s_mul_i32 s61, s60, s61                                    // 000000004344: 923D3D3C
	s_add_u32 s82, s82, s61                                    // 000000004348: 80523D52
	v_mul_lo_u32 v6, v5, s82                                   // 00000000434C: D2850006 0000A505
	v_readlane_b32 s82, v3, 1                                  // 000000004354: D2890052 00010303
	s_lshr_b32 s61, s82, 24                                    // 00000000435C: 8F3D9852
	s_and_b32 s82, s82, 0xffffff                               // 000000004360: 8652FF52 00FFFFFF
	s_mul_i32 s82, s82, s71                                    // 000000004368: 92524752
	s_mul_i32 s61, s60, s61                                    // 00000000436C: 923D3D3C
	s_add_u32 s82, s82, s61                                    // 000000004370: 80523D52
	v_mul_lo_u32 v7, v4, s82                                   // 000000004374: D2850007 0000A504
	v_add_u32_e32 v34, v6, v7                                  // 00000000437C: 68440F06
	v_readlane_b32 s82, v3, 2                                  // 000000004380: D2890052 00010503
	s_lshr_b32 s61, s82, 24                                    // 000000004388: 8F3D9852
	s_and_b32 s82, s82, 0xffffff                               // 00000000438C: 8652FF52 00FFFFFF
	s_mul_i32 s82, s82, s71                                    // 000000004394: 92524752
	s_mul_i32 s61, s60, s61                                    // 000000004398: 923D3D3C
	s_add_u32 s82, s82, s61                                    // 00000000439C: 80523D52
	v_mul_lo_u32 v6, v5, s82                                   // 0000000043A0: D2850006 0000A505
	v_readlane_b32 s82, v3, 3                                  // 0000000043A8: D2890052 00010703
	s_lshr_b32 s61, s82, 24                                    // 0000000043B0: 8F3D9852
	s_and_b32 s82, s82, 0xffffff                               // 0000000043B4: 8652FF52 00FFFFFF
	s_mul_i32 s82, s82, s71                                    // 0000000043BC: 92524752
	s_mul_i32 s61, s60, s61                                    // 0000000043C0: 923D3D3C
	s_add_u32 s82, s82, s61                                    // 0000000043C4: 80523D52
	v_mul_lo_u32 v7, v4, s82                                   // 0000000043C8: D2850007 0000A504
	v_add_u32_e32 v35, v6, v7                                  // 0000000043D0: 68460F06
	v_and_b32_e32 v4, 31, v0                                   // 0000000043D4: 2608009F
	v_lshrrev_b32_e32 v4, 1, v4                                // 0000000043D8: 20080881
	s_cmp_eq_u32 s88, 0                                        // 0000000043DC: BF068058
	s_cselect_b32 s61, 2, 4                                    // 0000000043E0: 853D8482
	v_mul_lo_u32 v4, v4, s61                                   // 0000000043E4: D2850004 00007B04
	v_and_b32_e64 v5, v0, 1                                    // 0000000043EC: D1130005 00010300
	v_add_u32_e32 v4, v4, v5                                   // 0000000043F4: 68080B04
	v_lshlrev_b32_e32 v4, 2, v4                                // 0000000043F8: 24080882
	v_add_u32_e32 v34, v34, v4                                 // 0000000043FC: 68440922
	v_add_u32_e32 v35, v35, v4                                 // 000000004400: 68460923
	s_waitcnt lgkmcnt(0)                                       // 000000004404: BF8CC07F
	s_barrier                                                  // 000000004408: BF8A0000
	ds_read_b32 v40, v21                                       // 00000000440C: D86C0000 28000015
	ds_read_b32 v41, v21 offset:64                             // 000000004414: D86C0040 29000015
	ds_read_b32 v44, v21 offset:2176                           // 00000000441C: D86C0880 2C000015
	ds_read_b32 v45, v21 offset:2240                           // 000000004424: D86C08C0 2D000015
	s_waitcnt lgkmcnt(0)                                       // 00000000442C: BF8CC07F
	s_mov_b32 s36, -1                                          // 000000004430: BEA400C1
	s_mov_b32 s37, -1                                          // 000000004434: BEA500C1
	v_mov_b32_e32 v7, 0                                        // 000000004438: 7E0E0280
	s_mov_b64 exec, s[36:37]                                   // 00000000443C: BEFE0124
	v_mov_b32_e32 v6, v34                                      // 000000004440: 7E0C0322
	s_mov_b64 s[60:61], 0                                      // 000000004444: BEBC0180
	v_readlane_b32 s82, v3, 0                                  // 000000004448: D2890052 00010103
	s_and_b32 s82, s82, 0xffffff                               // 000000004450: 8652FF52 00FFFFFF
	s_cmp_lt_u32 s82, s66                                      // 000000004458: BF0A4252
	s_cselect_b32 s20, s36, s60                                // 00000000445C: 85143C24
	v_readlane_b32 s82, v3, 1                                  // 000000004460: D2890052 00010303
	s_and_b32 s82, s82, 0xffffff                               // 000000004468: 8652FF52 00FFFFFF
	s_cmp_lt_u32 s82, s66                                      // 000000004470: BF0A4252
	s_cselect_b32 s21, s36, s60                                // 000000004474: 85153C24
	s_mov_b64 exec, s[20:21]                                   // 000000004478: BEFE0114
	global_atomic_add_f32 v6, v40, s[8:9]                      // 00000000447C: DD348000 00082806
	global_atomic_add_f32 v6, v44, s[8:9] offset:256           // 000000004484: DD348100 00082C06
	s_mov_b64 exec, s[36:37]                                   // 00000000448C: BEFE0124
	v_mov_b32_e32 v6, v35                                      // 000000004490: 7E0C0323
	s_mov_b64 s[60:61], 0                                      // 000000004494: BEBC0180
	v_readlane_b32 s82, v3, 2                                  // 000000004498: D2890052 00010503
	s_and_b32 s82, s82, 0xffffff                               // 0000000044A0: 8652FF52 00FFFFFF
	s_cmp_lt_u32 s82, s66                                      // 0000000044A8: BF0A4252
	s_cselect_b32 s20, s36, s60                                // 0000000044AC: 85143C24
	v_readlane_b32 s82, v3, 3                                  // 0000000044B0: D2890052 00010703
	s_and_b32 s82, s82, 0xffffff                               // 0000000044B8: 8652FF52 00FFFFFF
	s_cmp_lt_u32 s82, s66                                      // 0000000044C0: BF0A4252
	s_cselect_b32 s21, s36, s60                                // 0000000044C4: 85153C24
	s_mov_b64 exec, s[20:21]                                   // 0000000044C8: BEFE0114
	global_atomic_add_f32 v6, v41, s[8:9]                      // 0000000044CC: DD348000 00082906
	global_atomic_add_f32 v6, v45, s[8:9] offset:256           // 0000000044D4: DD348100 00082D06
	s_mov_b64 exec, s[36:37]                                   // 0000000044DC: BEFE0124
	ds_write_b64 v20, v[42:43]                                 // 0000000044E0: D89A0000 00002A14
	ds_write_b64 v20, v[46:47] offset:2176                     // 0000000044E8: D89A0880 00002E14
	s_waitcnt lgkmcnt(0)                                       // 0000000044F0: BF8CC07F
	s_barrier                                                  // 0000000044F4: BF8A0000
	ds_read_b32 v42, v21                                       // 0000000044F8: D86C0000 2A000015
	ds_read_b32 v43, v21 offset:64                             // 000000004500: D86C0040 2B000015
	ds_read_b32 v46, v21 offset:2176                           // 000000004508: D86C0880 2E000015
	ds_read_b32 v47, v21 offset:2240                           // 000000004510: D86C08C0 2F000015
	s_waitcnt lgkmcnt(0)                                       // 000000004518: BF8CC07F
	v_mov_b32_e32 v7, 0                                        // 00000000451C: 7E0E0280
	s_mov_b64 exec, s[36:37]                                   // 000000004520: BEFE0124
	v_mov_b32_e32 v6, v34                                      // 000000004524: 7E0C0322
	s_mov_b64 s[60:61], 0                                      // 000000004528: BEBC0180
	v_readlane_b32 s82, v3, 0                                  // 00000000452C: D2890052 00010103
	s_and_b32 s82, s82, 0xffffff                               // 000000004534: 8652FF52 00FFFFFF
	s_cmp_lt_u32 s82, s66                                      // 00000000453C: BF0A4252
	s_cselect_b32 s20, s36, s60                                // 000000004540: 85143C24
	v_readlane_b32 s82, v3, 1                                  // 000000004544: D2890052 00010303
	s_and_b32 s82, s82, 0xffffff                               // 00000000454C: 8652FF52 00FFFFFF
	s_cmp_lt_u32 s82, s66                                      // 000000004554: BF0A4252
	s_cselect_b32 s21, s36, s60                                // 000000004558: 85153C24
	s_mov_b64 exec, s[20:21]                                   // 00000000455C: BEFE0114
	global_atomic_add_f32 v6, v42, s[8:9] offset:8             // 000000004560: DD348008 00082A06
	global_atomic_add_f32 v6, v46, s[8:9] offset:264           // 000000004568: DD348108 00082E06
	s_mov_b64 exec, s[36:37]                                   // 000000004570: BEFE0124
	v_mov_b32_e32 v6, v35                                      // 000000004574: 7E0C0323
	s_mov_b64 s[60:61], 0                                      // 000000004578: BEBC0180
	v_readlane_b32 s82, v3, 2                                  // 00000000457C: D2890052 00010503
	s_and_b32 s82, s82, 0xffffff                               // 000000004584: 8652FF52 00FFFFFF
	s_cmp_lt_u32 s82, s66                                      // 00000000458C: BF0A4252
	s_cselect_b32 s20, s36, s60                                // 000000004590: 85143C24
	v_readlane_b32 s82, v3, 3                                  // 000000004594: D2890052 00010703
	s_and_b32 s82, s82, 0xffffff                               // 00000000459C: 8652FF52 00FFFFFF
	s_cmp_lt_u32 s82, s66                                      // 0000000045A4: BF0A4252
	s_cselect_b32 s21, s36, s60                                // 0000000045A8: 85153C24
	s_mov_b64 exec, s[20:21]                                   // 0000000045AC: BEFE0114
	global_atomic_add_f32 v6, v43, s[8:9] offset:8             // 0000000045B0: DD348008 00082B06
	global_atomic_add_f32 v6, v47, s[8:9] offset:264           // 0000000045B8: DD348108 00082F06
	s_mov_b64 exec, s[36:37]                                   // 0000000045C0: BEFE0124
	ds_write_b64 v20, v[48:49]                                 // 0000000045C4: D89A0000 00003014
	ds_write_b64 v20, v[52:53] offset:2176                     // 0000000045CC: D89A0880 00003414
	s_waitcnt lgkmcnt(0)                                       // 0000000045D4: BF8CC07F
	s_barrier                                                  // 0000000045D8: BF8A0000
	ds_read_b32 v48, v21                                       // 0000000045DC: D86C0000 30000015
	ds_read_b32 v49, v21 offset:64                             // 0000000045E4: D86C0040 31000015
	ds_read_b32 v52, v21 offset:2176                           // 0000000045EC: D86C0880 34000015
	ds_read_b32 v53, v21 offset:2240                           // 0000000045F4: D86C08C0 35000015
	s_mul_i32 s60, s65, 4                                      // 0000000045FC: 923C8441
	s_add_u32 s8, s60, s8                                      // 000000004600: 8008083C
	s_addc_u32 s9, 0, s9                                       // 000000004604: 82090980
	s_waitcnt lgkmcnt(0)                                       // 000000004608: BF8CC07F
	v_mov_b32_e32 v7, 0                                        // 00000000460C: 7E0E0280
	s_mov_b64 exec, s[36:37]                                   // 000000004610: BEFE0124
	v_mov_b32_e32 v6, v34                                      // 000000004614: 7E0C0322
	s_mov_b64 s[60:61], 0                                      // 000000004618: BEBC0180
	v_readlane_b32 s82, v3, 0                                  // 00000000461C: D2890052 00010103
	s_and_b32 s82, s82, 0xffffff                               // 000000004624: 8652FF52 00FFFFFF
	s_cmp_lt_u32 s82, s66                                      // 00000000462C: BF0A4252
	s_cselect_b32 s20, s36, s60                                // 000000004630: 85143C24
	v_readlane_b32 s82, v3, 1                                  // 000000004634: D2890052 00010303
	s_and_b32 s82, s82, 0xffffff                               // 00000000463C: 8652FF52 00FFFFFF
	s_cmp_lt_u32 s82, s66                                      // 000000004644: BF0A4252
	s_cselect_b32 s21, s36, s60                                // 000000004648: 85153C24
	s_mov_b64 exec, s[20:21]                                   // 00000000464C: BEFE0114
	global_atomic_add_f32 v6, v48, s[8:9]                      // 000000004650: DD348000 00083006
	global_atomic_add_f32 v6, v52, s[8:9] offset:256           // 000000004658: DD348100 00083406
	s_mov_b64 exec, s[36:37]                                   // 000000004660: BEFE0124
	v_mov_b32_e32 v6, v35                                      // 000000004664: 7E0C0323
	s_mov_b64 s[60:61], 0                                      // 000000004668: BEBC0180
	v_readlane_b32 s82, v3, 2                                  // 00000000466C: D2890052 00010503
	s_and_b32 s82, s82, 0xffffff                               // 000000004674: 8652FF52 00FFFFFF
	s_cmp_lt_u32 s82, s66                                      // 00000000467C: BF0A4252
	s_cselect_b32 s20, s36, s60                                // 000000004680: 85143C24
	v_readlane_b32 s82, v3, 3                                  // 000000004684: D2890052 00010703
	s_and_b32 s82, s82, 0xffffff                               // 00000000468C: 8652FF52 00FFFFFF
	s_cmp_lt_u32 s82, s66                                      // 000000004694: BF0A4252
	s_cselect_b32 s21, s36, s60                                // 000000004698: 85153C24
	s_mov_b64 exec, s[20:21]                                   // 00000000469C: BEFE0114
	global_atomic_add_f32 v6, v49, s[8:9]                      // 0000000046A0: DD348000 00083106
	global_atomic_add_f32 v6, v53, s[8:9] offset:256           // 0000000046A8: DD348100 00083506
	s_mov_b64 exec, s[36:37]                                   // 0000000046B0: BEFE0124
	ds_write_b64 v20, v[50:51]                                 // 0000000046B4: D89A0000 00003214
	ds_write_b64 v20, v[54:55] offset:2176                     // 0000000046BC: D89A0880 00003614
	s_waitcnt lgkmcnt(0)                                       // 0000000046C4: BF8CC07F
	s_barrier                                                  // 0000000046C8: BF8A0000
	ds_read_b32 v50, v21                                       // 0000000046CC: D86C0000 32000015
	ds_read_b32 v51, v21 offset:64                             // 0000000046D4: D86C0040 33000015
	ds_read_b32 v54, v21 offset:2176                           // 0000000046DC: D86C0880 36000015
	ds_read_b32 v55, v21 offset:2240                           // 0000000046E4: D86C08C0 37000015
	s_waitcnt lgkmcnt(0)                                       // 0000000046EC: BF8CC07F
	v_mov_b32_e32 v7, 0                                        // 0000000046F0: 7E0E0280
	s_mov_b64 exec, s[36:37]                                   // 0000000046F4: BEFE0124
	v_mov_b32_e32 v6, v34                                      // 0000000046F8: 7E0C0322
	s_mov_b64 s[60:61], 0                                      // 0000000046FC: BEBC0180
	v_readlane_b32 s82, v3, 0                                  // 000000004700: D2890052 00010103
	s_and_b32 s82, s82, 0xffffff                               // 000000004708: 8652FF52 00FFFFFF
	s_cmp_lt_u32 s82, s66                                      // 000000004710: BF0A4252
	s_cselect_b32 s20, s36, s60                                // 000000004714: 85143C24
	v_readlane_b32 s82, v3, 1                                  // 000000004718: D2890052 00010303
	s_and_b32 s82, s82, 0xffffff                               // 000000004720: 8652FF52 00FFFFFF
	s_cmp_lt_u32 s82, s66                                      // 000000004728: BF0A4252
	s_cselect_b32 s21, s36, s60                                // 00000000472C: 85153C24
	s_mov_b64 exec, s[20:21]                                   // 000000004730: BEFE0114
	global_atomic_add_f32 v6, v50, s[8:9] offset:8             // 000000004734: DD348008 00083206
	global_atomic_add_f32 v6, v54, s[8:9] offset:264           // 00000000473C: DD348108 00083606
	s_mov_b64 exec, s[36:37]                                   // 000000004744: BEFE0124
	v_mov_b32_e32 v6, v35                                      // 000000004748: 7E0C0323
	s_mov_b64 s[60:61], 0                                      // 00000000474C: BEBC0180
	v_readlane_b32 s82, v3, 2                                  // 000000004750: D2890052 00010503
	s_and_b32 s82, s82, 0xffffff                               // 000000004758: 8652FF52 00FFFFFF
	s_cmp_lt_u32 s82, s66                                      // 000000004760: BF0A4252
	s_cselect_b32 s20, s36, s60                                // 000000004764: 85143C24
	v_readlane_b32 s82, v3, 3                                  // 000000004768: D2890052 00010703
	s_and_b32 s82, s82, 0xffffff                               // 000000004770: 8652FF52 00FFFFFF
	s_cmp_lt_u32 s82, s66                                      // 000000004778: BF0A4252
	s_cselect_b32 s21, s36, s60                                // 00000000477C: 85153C24
	s_mov_b64 exec, s[20:21]                                   // 000000004780: BEFE0114
	global_atomic_add_f32 v6, v51, s[8:9] offset:8             // 000000004784: DD348008 00083306
	global_atomic_add_f32 v6, v55, s[8:9] offset:264           // 00000000478C: DD348108 00083706
	s_mov_b64 exec, s[36:37]                                   // 000000004794: BEFE0124
	s_branch label_0D3D                                        // 000000004798: BF8205D3

000000000000479c <label_076A>:
	s_waitcnt vmcnt(8) lgkmcnt(0)                              // 00000000479C: BF8C0078
	v_mul_f32_dpp v4, v24, v31 row_newbcast:0 row_mask:0xf bank_mask:0xf// 0000000047A0: 0A083EFA FF015018
	v_mfma_f32_16x16x32_fp8_fp8 v[8:11], a[16:17], a[0:1], 0   // 0000000047A8: D3F30008 1A020110
	buffer_load_dword v25, v22, s[32:35], 0 offen              // 0000000047B0: E0501000 80081916
	buffer_load_dwordx4 a[48:51], v36, s[24:27], 0 offen       // 0000000047B8: E05C1000 80863024
	v_mfma_f32_16x16x32_fp8_fp8 v[8:11], a[18:19], a[2:3], v[8:11]// 0000000047C0: D3F30008 1C220512
	v_mfma_f32_16x16x32_fp8_fp8 v[8:11], a[20:21], a[4:5], v[8:11]// 0000000047C8: D3F30008 1C220914
	v_mfma_f32_16x16x32_fp8_fp8 v[8:11], a[22:23], a[6:7], v[8:11]// 0000000047D0: D3F30008 1C220D16
	v_mfma_f32_16x16x32_fp8_fp8 v[12:15], a[24:25], a[0:1], 0  // 0000000047D8: D3F3000C 1A020118
	buffer_load_dwordx4 a[52:55], v36, s[24:27], 0 offen offset:1024// 0000000047E0: E05C1400 80863424
	v_mfma_f32_16x16x32_fp8_fp8 v[12:15], a[26:27], a[2:3], v[12:15]// 0000000047E8: D3F3000C 1C32051A
	v_mfma_f32_16x16x32_fp8_fp8 v[12:15], a[28:29], a[4:5], v[12:15]// 0000000047F0: D3F3000C 1C32091C
	v_mfma_f32_16x16x32_fp8_fp8 v[12:15], a[30:31], a[6:7], v[12:15]// 0000000047F8: D3F3000C 1C320D1E
	v_fma_f32 v40, v8, v4, v40                                 // 000000004800: D1CB0028 04A20908
	v_fma_f32 v41, v9, v4, v41                                 // 000000004808: D1CB0029 04A60909
	v_fma_f32 v42, v10, v4, v42                                // 000000004810: D1CB002A 04AA090A
	v_fma_f32 v43, v11, v4, v43                                // 000000004818: D1CB002B 04AE090B
	v_fma_f32 v44, v12, v4, v44                                // 000000004820: D1CB002C 04B2090C
	v_fma_f32 v45, v13, v4, v45                                // 000000004828: D1CB002D 04B6090D
	v_fma_f32 v46, v14, v4, v46                                // 000000004830: D1CB002E 04BA090E
	v_fma_f32 v47, v15, v4, v47                                // 000000004838: D1CB002F 04BE090F
	buffer_load_dwordx4 a[56:59], v37, s[24:27], 0 offen       // 000000004840: E05C1000 80863825
	buffer_load_dwordx4 a[60:63], v37, s[24:27], 0 offen offset:1024// 000000004848: E05C1400 80863C25
	buffer_load_dword v34, s[20:23], 0 offen lds               // 000000004850: E0511000 80050022
	s_add_u32 m0, 0x100, s50                                   // 000000004858: 807C32FF 00000100
	buffer_load_dword v35, s[20:23], 0 offen lds               // 000000004860: E0511000 80050023
	s_add_u32 m0, 0, s48                                       // 000000004868: 807C3080
	buffer_load_dword v33, v30, s[28:31], 0 offen              // 00000000486C: E0501000 8007211E
	s_waitcnt vmcnt(8)                                         // 000000004874: BF8C0F78
	s_barrier                                                  // 000000004878: BF8A0000
	v_mul_f32_dpp v4, v27, v31 row_newbcast:0 row_mask:0xf bank_mask:0xf// 00000000487C: 0A083EFA FF01501B
	v_mfma_f32_16x16x32_fp8_fp8 v[8:11], a[32:33], a[0:1], 0   // 000000004884: D3F30008 1A020120
	buffer_load_dword v28, v23, s[32:35], 0 offen              // 00000000488C: E0501000 80081C17
	buffer_load_dwordx4 a[16:19], v36, s[84:87], 0 offen       // 000000004894: E05C1000 80951024
	s_add_u32 s60, 0x180, s80                                  // 00000000489C: 803C50FF 00000180
	s_cmp_lt_u32 s60, s81                                      // 0000000048A4: BF0A513C
	s_cselect_b32 s57, s57, 0                                  // 0000000048A8: 85398039
	s_cselect_b32 s3, s3, 0                                    // 0000000048AC: 85038003
	v_mfma_f32_16x16x32_fp8_fp8 v[8:11], a[34:35], a[2:3], v[8:11]// 0000000048B0: D3F30008 1C220522
	s_add_u32 s60, 0x100, s80                                  // 0000000048B8: 803C50FF 00000100
	s_cmp_lt_u32 s60, s81                                      // 0000000048C0: BF0A513C
	s_cselect_b32 s58, s58, 0                                  // 0000000048C4: 853A803A
	v_mfma_f32_16x16x32_fp8_fp8 v[8:11], a[36:37], a[4:5], v[8:11]// 0000000048C8: D3F30008 1C220924
	ds_read_b128 a[8:11], v2 offset:2176                       // 0000000048D0: DBFE0880 08000002
	ds_read_b128 a[12:15], v2 offset:2240                      // 0000000048D8: DBFE08C0 0C000002
	s_add_u32 s60, 0x100, s80                                  // 0000000048E0: 803C50FF 00000100
	s_cmp_lt_u32 s60, s81                                      // 0000000048E8: BF0A513C
	s_cselect_b32 s83, s83, 0                                  // 0000000048EC: 85538053
	s_cselect_b32 s4, s4, 0                                    // 0000000048F0: 85048004
	v_mfma_f32_16x16x32_fp8_fp8 v[8:11], a[38:39], a[6:7], v[8:11]// 0000000048F4: D3F30008 1C220D26
	s_add_u32 s24, s58, s24                                    // 0000000048FC: 8018183A
	s_addc_u32 s25, 0, s25                                     // 000000004900: 82191980
	v_mfma_f32_16x16x32_fp8_fp8 v[12:15], a[40:41], a[0:1], 0  // 000000004904: D3F3000C 1A020128
	buffer_load_dwordx4 a[20:23], v36, s[84:87], 0 offen offset:1024// 00000000490C: E05C1400 80951424
	s_add_u32 s20, s57, s20                                    // 000000004914: 80141439
	s_addc_u32 s21, 0, s21                                     // 000000004918: 82151580
	s_add_u32 s28, s3, s28                                     // 00000000491C: 801C1C03
	s_addc_u32 s29, 0, s29                                     // 000000004920: 821D1D80
	v_mfma_f32_16x16x32_fp8_fp8 v[12:15], a[42:43], a[2:3], v[12:15]// 000000004924: D3F3000C 1C32052A
	v_mfma_f32_16x16x32_fp8_fp8 v[12:15], a[44:45], a[4:5], v[12:15]// 00000000492C: D3F3000C 1C32092C
	s_add_u32 s32, s4, s32                                     // 000000004934: 80202004
	s_addc_u32 s33, 0, s33                                     // 000000004938: 82212180
	v_mfma_f32_16x16x32_fp8_fp8 v[12:15], a[46:47], a[6:7], v[12:15]// 00000000493C: D3F3000C 1C320D2E
	v_fma_f32 v48, v8, v4, v48                                 // 000000004944: D1CB0030 04C20908
	v_fma_f32 v49, v9, v4, v49                                 // 00000000494C: D1CB0031 04C60909
	v_fma_f32 v50, v10, v4, v50                                // 000000004954: D1CB0032 04CA090A
	v_fma_f32 v51, v11, v4, v51                                // 00000000495C: D1CB0033 04CE090B
	v_fma_f32 v52, v12, v4, v52                                // 000000004964: D1CB0034 04D2090C
	v_fma_f32 v53, v13, v4, v53                                // 00000000496C: D1CB0035 04D6090D
	v_fma_f32 v54, v14, v4, v54                                // 000000004974: D1CB0036 04DA090E
	v_fma_f32 v55, v15, v4, v55                                // 00000000497C: D1CB0037 04DE090F
	buffer_load_dwordx4 a[24:27], v37, s[84:87], 0 offen       // 000000004984: E05C1000 80951825
	buffer_load_dwordx4 a[28:31], v37, s[84:87], 0 offen offset:1024// 00000000498C: E05C1400 80951C25
	s_add_u32 s84, s83, s84                                    // 000000004994: 80545453
	s_addc_u32 s85, 0, s85                                     // 000000004998: 82555580
	s_addk_i32 s80, 0x80                                       // 00000000499C: B7500080
	s_cmp_lt_i32 s80, s81                                      // 0000000049A0: BF045150
	s_cbranch_scc0 label_0A7D                                  // 0000000049A4: BF840290
	s_waitcnt vmcnt(8) lgkmcnt(0)                              // 0000000049A8: BF8C0078
	v_mul_f32_dpp v4, v25, v32 row_newbcast:0 row_mask:0xf bank_mask:0xf// 0000000049AC: 0A0840FA FF015019
	v_mfma_f32_16x16x32_fp8_fp8 v[8:11], a[48:49], a[8:9], 0   // 0000000049B4: D3F30008 1A021130
	buffer_load_dword v26, v22, s[32:35], 0 offen              // 0000000049BC: E0501000 80081A16
	buffer_load_dwordx4 a[32:35], v36, s[24:27], 0 offen       // 0000000049C4: E05C1000 80862024
	v_mfma_f32_16x16x32_fp8_fp8 v[8:11], a[50:51], a[10:11], v[8:11]// 0000000049CC: D3F30008 1C221532
	v_mfma_f32_16x16x32_fp8_fp8 v[8:11], a[52:53], a[12:13], v[8:11]// 0000000049D4: D3F30008 1C221934
	v_mfma_f32_16x16x32_fp8_fp8 v[8:11], a[54:55], a[14:15], v[8:11]// 0000000049DC: D3F30008 1C221D36
	v_mfma_f32_16x16x32_fp8_fp8 v[12:15], a[56:57], a[8:9], 0  // 0000000049E4: D3F3000C 1A021138
	buffer_load_dwordx4 a[36:39], v36, s[24:27], 0 offen offset:1024// 0000000049EC: E05C1400 80862424
	v_mfma_f32_16x16x32_fp8_fp8 v[12:15], a[58:59], a[10:11], v[12:15]// 0000000049F4: D3F3000C 1C32153A
	v_mfma_f32_16x16x32_fp8_fp8 v[12:15], a[60:61], a[12:13], v[12:15]// 0000000049FC: D3F3000C 1C32193C
	v_mfma_f32_16x16x32_fp8_fp8 v[12:15], a[62:63], a[14:15], v[12:15]// 000000004A04: D3F3000C 1C321D3E
	v_fma_f32 v40, v8, v4, v40                                 // 000000004A0C: D1CB0028 04A20908
	v_fma_f32 v41, v9, v4, v41                                 // 000000004A14: D1CB0029 04A60909
	v_fma_f32 v42, v10, v4, v42                                // 000000004A1C: D1CB002A 04AA090A
	v_fma_f32 v43, v11, v4, v43                                // 000000004A24: D1CB002B 04AE090B
	v_fma_f32 v44, v12, v4, v44                                // 000000004A2C: D1CB002C 04B2090C
	v_fma_f32 v45, v13, v4, v45                                // 000000004A34: D1CB002D 04B6090D
	v_fma_f32 v46, v14, v4, v46                                // 000000004A3C: D1CB002E 04BA090E
	v_fma_f32 v47, v15, v4, v47                                // 000000004A44: D1CB002F 04BE090F
	buffer_load_dwordx4 a[40:43], v37, s[24:27], 0 offen       // 000000004A4C: E05C1000 80862825
	buffer_load_dwordx4 a[44:47], v37, s[24:27], 0 offen offset:1024// 000000004A54: E05C1400 80862C25
	buffer_load_dword v34, s[20:23], 0 offen lds               // 000000004A5C: E0511000 80050022
	s_add_u32 m0, 0x100, s48                                   // 000000004A64: 807C30FF 00000100
	buffer_load_dword v35, s[20:23], 0 offen lds               // 000000004A6C: E0511000 80050023
	s_add_u32 m0, 0, s49                                       // 000000004A74: 807C3180
	buffer_load_dword v31, v30, s[28:31], 0 offen              // 000000004A78: E0501000 80071F1E
	s_waitcnt vmcnt(8)                                         // 000000004A80: BF8C0F78
	s_barrier                                                  // 000000004A84: BF8A0000
	v_mul_f32_dpp v4, v28, v32 row_newbcast:0 row_mask:0xf bank_mask:0xf// 000000004A88: 0A0840FA FF01501C
	v_mfma_f32_16x16x32_fp8_fp8 v[8:11], a[16:17], a[8:9], 0   // 000000004A90: D3F30008 1A021110
	buffer_load_dword v29, v23, s[32:35], 0 offen              // 000000004A98: E0501000 80081D17
	buffer_load_dwordx4 a[48:51], v36, s[84:87], 0 offen       // 000000004AA0: E05C1000 80953024
	s_add_u32 s60, 0x180, s80                                  // 000000004AA8: 803C50FF 00000180
	s_cmp_lt_u32 s60, s81                                      // 000000004AB0: BF0A513C
	s_cselect_b32 s57, s57, 0                                  // 000000004AB4: 85398039
	s_cselect_b32 s3, s3, 0                                    // 000000004AB8: 85038003
	v_mfma_f32_16x16x32_fp8_fp8 v[8:11], a[18:19], a[10:11], v[8:11]// 000000004ABC: D3F30008 1C221512
	s_add_u32 s60, 0x100, s80                                  // 000000004AC4: 803C50FF 00000100
	s_cmp_lt_u32 s60, s81                                      // 000000004ACC: BF0A513C
	s_cselect_b32 s58, s58, 0                                  // 000000004AD0: 853A803A
	v_mfma_f32_16x16x32_fp8_fp8 v[8:11], a[20:21], a[12:13], v[8:11]// 000000004AD4: D3F30008 1C221914
	ds_read_b128 a[0:3], v2 offset:4352                        // 000000004ADC: DBFE1100 00000002
	ds_read_b128 a[4:7], v2 offset:4416                        // 000000004AE4: DBFE1140 04000002
	s_add_u32 s60, 0x100, s80                                  // 000000004AEC: 803C50FF 00000100
	s_cmp_lt_u32 s60, s81                                      // 000000004AF4: BF0A513C
	s_cselect_b32 s83, s83, 0                                  // 000000004AF8: 85538053
	s_cselect_b32 s4, s4, 0                                    // 000000004AFC: 85048004
	v_mfma_f32_16x16x32_fp8_fp8 v[8:11], a[22:23], a[14:15], v[8:11]// 000000004B00: D3F30008 1C221D16
	s_add_u32 s24, s58, s24                                    // 000000004B08: 8018183A
	s_addc_u32 s25, 0, s25                                     // 000000004B0C: 82191980
	v_mfma_f32_16x16x32_fp8_fp8 v[12:15], a[24:25], a[8:9], 0  // 000000004B10: D3F3000C 1A021118
	buffer_load_dwordx4 a[52:55], v36, s[84:87], 0 offen offset:1024// 000000004B18: E05C1400 80953424
	s_add_u32 s20, s57, s20                                    // 000000004B20: 80141439
	s_addc_u32 s21, 0, s21                                     // 000000004B24: 82151580
	s_add_u32 s28, s3, s28                                     // 000000004B28: 801C1C03
	s_addc_u32 s29, 0, s29                                     // 000000004B2C: 821D1D80
	v_mfma_f32_16x16x32_fp8_fp8 v[12:15], a[26:27], a[10:11], v[12:15]// 000000004B30: D3F3000C 1C32151A
	v_mfma_f32_16x16x32_fp8_fp8 v[12:15], a[28:29], a[12:13], v[12:15]// 000000004B38: D3F3000C 1C32191C
	s_add_u32 s32, s4, s32                                     // 000000004B40: 80202004
	s_addc_u32 s33, 0, s33                                     // 000000004B44: 82212180
	v_mfma_f32_16x16x32_fp8_fp8 v[12:15], a[30:31], a[14:15], v[12:15]// 000000004B48: D3F3000C 1C321D1E
	v_fma_f32 v48, v8, v4, v48                                 // 000000004B50: D1CB0030 04C20908
	v_fma_f32 v49, v9, v4, v49                                 // 000000004B58: D1CB0031 04C60909
	v_fma_f32 v50, v10, v4, v50                                // 000000004B60: D1CB0032 04CA090A
	v_fma_f32 v51, v11, v4, v51                                // 000000004B68: D1CB0033 04CE090B
	v_fma_f32 v52, v12, v4, v52                                // 000000004B70: D1CB0034 04D2090C
	v_fma_f32 v53, v13, v4, v53                                // 000000004B78: D1CB0035 04D6090D
	v_fma_f32 v54, v14, v4, v54                                // 000000004B80: D1CB0036 04DA090E
	v_fma_f32 v55, v15, v4, v55                                // 000000004B88: D1CB0037 04DE090F
	buffer_load_dwordx4 a[56:59], v37, s[84:87], 0 offen       // 000000004B90: E05C1000 80953825
	buffer_load_dwordx4 a[60:63], v37, s[84:87], 0 offen offset:1024// 000000004B98: E05C1400 80953C25
	s_add_u32 s84, s83, s84                                    // 000000004BA0: 80545453
	s_addc_u32 s85, 0, s85                                     // 000000004BA4: 82555580
	s_addk_i32 s80, 0x80                                       // 000000004BA8: B7500080
	s_cmp_lt_i32 s80, s81                                      // 000000004BAC: BF045150
	s_cbranch_scc0 label_0A7D                                  // 000000004BB0: BF84020D
	s_waitcnt vmcnt(8) lgkmcnt(0)                              // 000000004BB4: BF8C0078
	v_mul_f32_dpp v4, v26, v33 row_newbcast:0 row_mask:0xf bank_mask:0xf// 000000004BB8: 0A0842FA FF01501A
	v_mfma_f32_16x16x32_fp8_fp8 v[8:11], a[32:33], a[0:1], 0   // 000000004BC0: D3F30008 1A020120
	buffer_load_dword v24, v22, s[32:35], 0 offen              // 000000004BC8: E0501000 80081816
	buffer_load_dwordx4 a[16:19], v36, s[24:27], 0 offen       // 000000004BD0: E05C1000 80861024
	v_mfma_f32_16x16x32_fp8_fp8 v[8:11], a[34:35], a[2:3], v[8:11]// 000000004BD8: D3F30008 1C220522
	v_mfma_f32_16x16x32_fp8_fp8 v[8:11], a[36:37], a[4:5], v[8:11]// 000000004BE0: D3F30008 1C220924
	v_mfma_f32_16x16x32_fp8_fp8 v[8:11], a[38:39], a[6:7], v[8:11]// 000000004BE8: D3F30008 1C220D26
	v_mfma_f32_16x16x32_fp8_fp8 v[12:15], a[40:41], a[0:1], 0  // 000000004BF0: D3F3000C 1A020128
	buffer_load_dwordx4 a[20:23], v36, s[24:27], 0 offen offset:1024// 000000004BF8: E05C1400 80861424
	v_mfma_f32_16x16x32_fp8_fp8 v[12:15], a[42:43], a[2:3], v[12:15]// 000000004C00: D3F3000C 1C32052A
	v_mfma_f32_16x16x32_fp8_fp8 v[12:15], a[44:45], a[4:5], v[12:15]// 000000004C08: D3F3000C 1C32092C
	v_mfma_f32_16x16x32_fp8_fp8 v[12:15], a[46:47], a[6:7], v[12:15]// 000000004C10: D3F3000C 1C320D2E
	v_fma_f32 v40, v8, v4, v40                                 // 000000004C18: D1CB0028 04A20908
	v_fma_f32 v41, v9, v4, v41                                 // 000000004C20: D1CB0029 04A60909
	v_fma_f32 v42, v10, v4, v42                                // 000000004C28: D1CB002A 04AA090A
	v_fma_f32 v43, v11, v4, v43                                // 000000004C30: D1CB002B 04AE090B
	v_fma_f32 v44, v12, v4, v44                                // 000000004C38: D1CB002C 04B2090C
	v_fma_f32 v45, v13, v4, v45                                // 000000004C40: D1CB002D 04B6090D
	v_fma_f32 v46, v14, v4, v46                                // 000000004C48: D1CB002E 04BA090E
	v_fma_f32 v47, v15, v4, v47                                // 000000004C50: D1CB002F 04BE090F
	buffer_load_dwordx4 a[24:27], v37, s[24:27], 0 offen       // 000000004C58: E05C1000 80861825
	buffer_load_dwordx4 a[28:31], v37, s[24:27], 0 offen offset:1024// 000000004C60: E05C1400 80861C25
	buffer_load_dword v34, s[20:23], 0 offen lds               // 000000004C68: E0511000 80050022
	s_add_u32 m0, 0x100, s49                                   // 000000004C70: 807C31FF 00000100
	buffer_load_dword v35, s[20:23], 0 offen lds               // 000000004C78: E0511000 80050023
	s_add_u32 m0, 0, s50                                       // 000000004C80: 807C3280
	buffer_load_dword v32, v30, s[28:31], 0 offen              // 000000004C84: E0501000 8007201E
	s_waitcnt vmcnt(8)                                         // 000000004C8C: BF8C0F78
	s_barrier                                                  // 000000004C90: BF8A0000
	v_mul_f32_dpp v4, v29, v33 row_newbcast:0 row_mask:0xf bank_mask:0xf// 000000004C94: 0A0842FA FF01501D
	v_mfma_f32_16x16x32_fp8_fp8 v[8:11], a[48:49], a[0:1], 0   // 000000004C9C: D3F30008 1A020130
	buffer_load_dword v27, v23, s[32:35], 0 offen              // 000000004CA4: E0501000 80081B17
	buffer_load_dwordx4 a[32:35], v36, s[84:87], 0 offen       // 000000004CAC: E05C1000 80952024
	s_add_u32 s60, 0x180, s80                                  // 000000004CB4: 803C50FF 00000180
	s_cmp_lt_u32 s60, s81                                      // 000000004CBC: BF0A513C
	s_cselect_b32 s57, s57, 0                                  // 000000004CC0: 85398039
	s_cselect_b32 s3, s3, 0                                    // 000000004CC4: 85038003
	v_mfma_f32_16x16x32_fp8_fp8 v[8:11], a[50:51], a[2:3], v[8:11]// 000000004CC8: D3F30008 1C220532
	s_add_u32 s60, 0x100, s80                                  // 000000004CD0: 803C50FF 00000100
	s_cmp_lt_u32 s60, s81                                      // 000000004CD8: BF0A513C
	s_cselect_b32 s58, s58, 0                                  // 000000004CDC: 853A803A
	v_mfma_f32_16x16x32_fp8_fp8 v[8:11], a[52:53], a[4:5], v[8:11]// 000000004CE0: D3F30008 1C220934
	ds_read_b128 a[8:11], v2                                   // 000000004CE8: DBFE0000 08000002
	ds_read_b128 a[12:15], v2 offset:64                        // 000000004CF0: DBFE0040 0C000002
	s_add_u32 s60, 0x100, s80                                  // 000000004CF8: 803C50FF 00000100
	s_cmp_lt_u32 s60, s81                                      // 000000004D00: BF0A513C
	s_cselect_b32 s83, s83, 0                                  // 000000004D04: 85538053
	s_cselect_b32 s4, s4, 0                                    // 000000004D08: 85048004
	v_mfma_f32_16x16x32_fp8_fp8 v[8:11], a[54:55], a[6:7], v[8:11]// 000000004D0C: D3F30008 1C220D36
	s_add_u32 s24, s58, s24                                    // 000000004D14: 8018183A
	s_addc_u32 s25, 0, s25                                     // 000000004D18: 82191980
	v_mfma_f32_16x16x32_fp8_fp8 v[12:15], a[56:57], a[0:1], 0  // 000000004D1C: D3F3000C 1A020138
	buffer_load_dwordx4 a[36:39], v36, s[84:87], 0 offen offset:1024// 000000004D24: E05C1400 80952424
	s_add_u32 s20, s57, s20                                    // 000000004D2C: 80141439
	s_addc_u32 s21, 0, s21                                     // 000000004D30: 82151580
	s_add_u32 s28, s3, s28                                     // 000000004D34: 801C1C03
	s_addc_u32 s29, 0, s29                                     // 000000004D38: 821D1D80
	v_mfma_f32_16x16x32_fp8_fp8 v[12:15], a[58:59], a[2:3], v[12:15]// 000000004D3C: D3F3000C 1C32053A
	v_mfma_f32_16x16x32_fp8_fp8 v[12:15], a[60:61], a[4:5], v[12:15]// 000000004D44: D3F3000C 1C32093C
	s_add_u32 s32, s4, s32                                     // 000000004D4C: 80202004
	s_addc_u32 s33, 0, s33                                     // 000000004D50: 82212180
	v_mfma_f32_16x16x32_fp8_fp8 v[12:15], a[62:63], a[6:7], v[12:15]// 000000004D54: D3F3000C 1C320D3E
	v_fma_f32 v48, v8, v4, v48                                 // 000000004D5C: D1CB0030 04C20908
	v_fma_f32 v49, v9, v4, v49                                 // 000000004D64: D1CB0031 04C60909
	v_fma_f32 v50, v10, v4, v50                                // 000000004D6C: D1CB0032 04CA090A
	v_fma_f32 v51, v11, v4, v51                                // 000000004D74: D1CB0033 04CE090B
	v_fma_f32 v52, v12, v4, v52                                // 000000004D7C: D1CB0034 04D2090C
	v_fma_f32 v53, v13, v4, v53                                // 000000004D84: D1CB0035 04D6090D
	v_fma_f32 v54, v14, v4, v54                                // 000000004D8C: D1CB0036 04DA090E
	v_fma_f32 v55, v15, v4, v55                                // 000000004D94: D1CB0037 04DE090F
	buffer_load_dwordx4 a[40:43], v37, s[84:87], 0 offen       // 000000004D9C: E05C1000 80952825
	buffer_load_dwordx4 a[44:47], v37, s[84:87], 0 offen offset:1024// 000000004DA4: E05C1400 80952C25
	s_add_u32 s84, s83, s84                                    // 000000004DAC: 80545453
	s_addc_u32 s85, 0, s85                                     // 000000004DB0: 82555580
	s_addk_i32 s80, 0x80                                       // 000000004DB4: B7500080
	s_cmp_lt_i32 s80, s81                                      // 000000004DB8: BF045150
	s_cbranch_scc0 label_0A7D                                  // 000000004DBC: BF84018A
	s_waitcnt vmcnt(8) lgkmcnt(0)                              // 000000004DC0: BF8C0078
	v_mul_f32_dpp v4, v24, v31 row_newbcast:0 row_mask:0xf bank_mask:0xf// 000000004DC4: 0A083EFA FF015018
	v_mfma_f32_16x16x32_fp8_fp8 v[8:11], a[16:17], a[8:9], 0   // 000000004DCC: D3F30008 1A021110
	buffer_load_dword v25, v22, s[32:35], 0 offen              // 000000004DD4: E0501000 80081916
	buffer_load_dwordx4 a[48:51], v36, s[24:27], 0 offen       // 000000004DDC: E05C1000 80863024
	v_mfma_f32_16x16x32_fp8_fp8 v[8:11], a[18:19], a[10:11], v[8:11]// 000000004DE4: D3F30008 1C221512
	v_mfma_f32_16x16x32_fp8_fp8 v[8:11], a[20:21], a[12:13], v[8:11]// 000000004DEC: D3F30008 1C221914
	v_mfma_f32_16x16x32_fp8_fp8 v[8:11], a[22:23], a[14:15], v[8:11]// 000000004DF4: D3F30008 1C221D16
	v_mfma_f32_16x16x32_fp8_fp8 v[12:15], a[24:25], a[8:9], 0  // 000000004DFC: D3F3000C 1A021118
	buffer_load_dwordx4 a[52:55], v36, s[24:27], 0 offen offset:1024// 000000004E04: E05C1400 80863424
	v_mfma_f32_16x16x32_fp8_fp8 v[12:15], a[26:27], a[10:11], v[12:15]// 000000004E0C: D3F3000C 1C32151A
	v_mfma_f32_16x16x32_fp8_fp8 v[12:15], a[28:29], a[12:13], v[12:15]// 000000004E14: D3F3000C 1C32191C
	v_mfma_f32_16x16x32_fp8_fp8 v[12:15], a[30:31], a[14:15], v[12:15]// 000000004E1C: D3F3000C 1C321D1E
	v_fma_f32 v40, v8, v4, v40                                 // 000000004E24: D1CB0028 04A20908
	v_fma_f32 v41, v9, v4, v41                                 // 000000004E2C: D1CB0029 04A60909
	v_fma_f32 v42, v10, v4, v42                                // 000000004E34: D1CB002A 04AA090A
	v_fma_f32 v43, v11, v4, v43                                // 000000004E3C: D1CB002B 04AE090B
	v_fma_f32 v44, v12, v4, v44                                // 000000004E44: D1CB002C 04B2090C
	v_fma_f32 v45, v13, v4, v45                                // 000000004E4C: D1CB002D 04B6090D
	v_fma_f32 v46, v14, v4, v46                                // 000000004E54: D1CB002E 04BA090E
	v_fma_f32 v47, v15, v4, v47                                // 000000004E5C: D1CB002F 04BE090F
	buffer_load_dwordx4 a[56:59], v37, s[24:27], 0 offen       // 000000004E64: E05C1000 80863825
	buffer_load_dwordx4 a[60:63], v37, s[24:27], 0 offen offset:1024// 000000004E6C: E05C1400 80863C25
	buffer_load_dword v34, s[20:23], 0 offen lds               // 000000004E74: E0511000 80050022
	s_add_u32 m0, 0x100, s50                                   // 000000004E7C: 807C32FF 00000100
	buffer_load_dword v35, s[20:23], 0 offen lds               // 000000004E84: E0511000 80050023
	s_add_u32 m0, 0, s48                                       // 000000004E8C: 807C3080
	buffer_load_dword v33, v30, s[28:31], 0 offen              // 000000004E90: E0501000 8007211E
	s_waitcnt vmcnt(8)                                         // 000000004E98: BF8C0F78
	s_barrier                                                  // 000000004E9C: BF8A0000
	v_mul_f32_dpp v4, v27, v31 row_newbcast:0 row_mask:0xf bank_mask:0xf// 000000004EA0: 0A083EFA FF01501B
	v_mfma_f32_16x16x32_fp8_fp8 v[8:11], a[32:33], a[8:9], 0   // 000000004EA8: D3F30008 1A021120
	buffer_load_dword v28, v23, s[32:35], 0 offen              // 000000004EB0: E0501000 80081C17
	buffer_load_dwordx4 a[16:19], v36, s[84:87], 0 offen       // 000000004EB8: E05C1000 80951024
	s_add_u32 s60, 0x180, s80                                  // 000000004EC0: 803C50FF 00000180
	s_cmp_lt_u32 s60, s81                                      // 000000004EC8: BF0A513C
	s_cselect_b32 s57, s57, 0                                  // 000000004ECC: 85398039
	s_cselect_b32 s3, s3, 0                                    // 000000004ED0: 85038003
	v_mfma_f32_16x16x32_fp8_fp8 v[8:11], a[34:35], a[10:11], v[8:11]// 000000004ED4: D3F30008 1C221522
	s_add_u32 s60, 0x100, s80                                  // 000000004EDC: 803C50FF 00000100
	s_cmp_lt_u32 s60, s81                                      // 000000004EE4: BF0A513C
	s_cselect_b32 s58, s58, 0                                  // 000000004EE8: 853A803A
	v_mfma_f32_16x16x32_fp8_fp8 v[8:11], a[36:37], a[12:13], v[8:11]// 000000004EEC: D3F30008 1C221924
	ds_read_b128 a[0:3], v2 offset:2176                        // 000000004EF4: DBFE0880 00000002
	ds_read_b128 a[4:7], v2 offset:2240                        // 000000004EFC: DBFE08C0 04000002
	s_add_u32 s60, 0x100, s80                                  // 000000004F04: 803C50FF 00000100
	s_cmp_lt_u32 s60, s81                                      // 000000004F0C: BF0A513C
	s_cselect_b32 s83, s83, 0                                  // 000000004F10: 85538053
	s_cselect_b32 s4, s4, 0                                    // 000000004F14: 85048004
	v_mfma_f32_16x16x32_fp8_fp8 v[8:11], a[38:39], a[14:15], v[8:11]// 000000004F18: D3F30008 1C221D26
	s_add_u32 s24, s58, s24                                    // 000000004F20: 8018183A
	s_addc_u32 s25, 0, s25                                     // 000000004F24: 82191980
	v_mfma_f32_16x16x32_fp8_fp8 v[12:15], a[40:41], a[8:9], 0  // 000000004F28: D3F3000C 1A021128
	buffer_load_dwordx4 a[20:23], v36, s[84:87], 0 offen offset:1024// 000000004F30: E05C1400 80951424
	s_add_u32 s20, s57, s20                                    // 000000004F38: 80141439
	s_addc_u32 s21, 0, s21                                     // 000000004F3C: 82151580
	s_add_u32 s28, s3, s28                                     // 000000004F40: 801C1C03
	s_addc_u32 s29, 0, s29                                     // 000000004F44: 821D1D80
	v_mfma_f32_16x16x32_fp8_fp8 v[12:15], a[42:43], a[10:11], v[12:15]// 000000004F48: D3F3000C 1C32152A
	v_mfma_f32_16x16x32_fp8_fp8 v[12:15], a[44:45], a[12:13], v[12:15]// 000000004F50: D3F3000C 1C32192C
	s_add_u32 s32, s4, s32                                     // 000000004F58: 80202004
	s_addc_u32 s33, 0, s33                                     // 000000004F5C: 82212180
	v_mfma_f32_16x16x32_fp8_fp8 v[12:15], a[46:47], a[14:15], v[12:15]// 000000004F60: D3F3000C 1C321D2E
	v_fma_f32 v48, v8, v4, v48                                 // 000000004F68: D1CB0030 04C20908
	v_fma_f32 v49, v9, v4, v49                                 // 000000004F70: D1CB0031 04C60909
	v_fma_f32 v50, v10, v4, v50                                // 000000004F78: D1CB0032 04CA090A
	v_fma_f32 v51, v11, v4, v51                                // 000000004F80: D1CB0033 04CE090B
	v_fma_f32 v52, v12, v4, v52                                // 000000004F88: D1CB0034 04D2090C
	v_fma_f32 v53, v13, v4, v53                                // 000000004F90: D1CB0035 04D6090D
	v_fma_f32 v54, v14, v4, v54                                // 000000004F98: D1CB0036 04DA090E
	v_fma_f32 v55, v15, v4, v55                                // 000000004FA0: D1CB0037 04DE090F
	buffer_load_dwordx4 a[24:27], v37, s[84:87], 0 offen       // 000000004FA8: E05C1000 80951825
	buffer_load_dwordx4 a[28:31], v37, s[84:87], 0 offen offset:1024// 000000004FB0: E05C1400 80951C25
	s_add_u32 s84, s83, s84                                    // 000000004FB8: 80545453
	s_addc_u32 s85, 0, s85                                     // 000000004FBC: 82555580
	s_addk_i32 s80, 0x80                                       // 000000004FC0: B7500080
	s_cmp_lt_i32 s80, s81                                      // 000000004FC4: BF045150
	s_cbranch_scc0 label_0A7D                                  // 000000004FC8: BF840107
	s_waitcnt vmcnt(8) lgkmcnt(0)                              // 000000004FCC: BF8C0078
	v_mul_f32_dpp v4, v25, v32 row_newbcast:0 row_mask:0xf bank_mask:0xf// 000000004FD0: 0A0840FA FF015019
	v_mfma_f32_16x16x32_fp8_fp8 v[8:11], a[48:49], a[0:1], 0   // 000000004FD8: D3F30008 1A020130
	buffer_load_dword v26, v22, s[32:35], 0 offen              // 000000004FE0: E0501000 80081A16
	buffer_load_dwordx4 a[32:35], v36, s[24:27], 0 offen       // 000000004FE8: E05C1000 80862024
	v_mfma_f32_16x16x32_fp8_fp8 v[8:11], a[50:51], a[2:3], v[8:11]// 000000004FF0: D3F30008 1C220532
	v_mfma_f32_16x16x32_fp8_fp8 v[8:11], a[52:53], a[4:5], v[8:11]// 000000004FF8: D3F30008 1C220934
	v_mfma_f32_16x16x32_fp8_fp8 v[8:11], a[54:55], a[6:7], v[8:11]// 000000005000: D3F30008 1C220D36
	v_mfma_f32_16x16x32_fp8_fp8 v[12:15], a[56:57], a[0:1], 0  // 000000005008: D3F3000C 1A020138
	buffer_load_dwordx4 a[36:39], v36, s[24:27], 0 offen offset:1024// 000000005010: E05C1400 80862424
	v_mfma_f32_16x16x32_fp8_fp8 v[12:15], a[58:59], a[2:3], v[12:15]// 000000005018: D3F3000C 1C32053A
	v_mfma_f32_16x16x32_fp8_fp8 v[12:15], a[60:61], a[4:5], v[12:15]// 000000005020: D3F3000C 1C32093C
	v_mfma_f32_16x16x32_fp8_fp8 v[12:15], a[62:63], a[6:7], v[12:15]// 000000005028: D3F3000C 1C320D3E
	v_fma_f32 v40, v8, v4, v40                                 // 000000005030: D1CB0028 04A20908
	v_fma_f32 v41, v9, v4, v41                                 // 000000005038: D1CB0029 04A60909
	v_fma_f32 v42, v10, v4, v42                                // 000000005040: D1CB002A 04AA090A
	v_fma_f32 v43, v11, v4, v43                                // 000000005048: D1CB002B 04AE090B
	v_fma_f32 v44, v12, v4, v44                                // 000000005050: D1CB002C 04B2090C
	v_fma_f32 v45, v13, v4, v45                                // 000000005058: D1CB002D 04B6090D
	v_fma_f32 v46, v14, v4, v46                                // 000000005060: D1CB002E 04BA090E
	v_fma_f32 v47, v15, v4, v47                                // 000000005068: D1CB002F 04BE090F
	buffer_load_dwordx4 a[40:43], v37, s[24:27], 0 offen       // 000000005070: E05C1000 80862825
	buffer_load_dwordx4 a[44:47], v37, s[24:27], 0 offen offset:1024// 000000005078: E05C1400 80862C25
	buffer_load_dword v34, s[20:23], 0 offen lds               // 000000005080: E0511000 80050022
	s_add_u32 m0, 0x100, s48                                   // 000000005088: 807C30FF 00000100
	buffer_load_dword v35, s[20:23], 0 offen lds               // 000000005090: E0511000 80050023
	s_add_u32 m0, 0, s49                                       // 000000005098: 807C3180
	buffer_load_dword v31, v30, s[28:31], 0 offen              // 00000000509C: E0501000 80071F1E
	s_waitcnt vmcnt(8)                                         // 0000000050A4: BF8C0F78
	s_barrier                                                  // 0000000050A8: BF8A0000
	v_mul_f32_dpp v4, v28, v32 row_newbcast:0 row_mask:0xf bank_mask:0xf// 0000000050AC: 0A0840FA FF01501C
	v_mfma_f32_16x16x32_fp8_fp8 v[8:11], a[16:17], a[0:1], 0   // 0000000050B4: D3F30008 1A020110
	buffer_load_dword v29, v23, s[32:35], 0 offen              // 0000000050BC: E0501000 80081D17
	buffer_load_dwordx4 a[48:51], v36, s[84:87], 0 offen       // 0000000050C4: E05C1000 80953024
	s_add_u32 s60, 0x180, s80                                  // 0000000050CC: 803C50FF 00000180
	s_cmp_lt_u32 s60, s81                                      // 0000000050D4: BF0A513C
	s_cselect_b32 s57, s57, 0                                  // 0000000050D8: 85398039
	s_cselect_b32 s3, s3, 0                                    // 0000000050DC: 85038003
	v_mfma_f32_16x16x32_fp8_fp8 v[8:11], a[18:19], a[2:3], v[8:11]// 0000000050E0: D3F30008 1C220512
	s_add_u32 s60, 0x100, s80                                  // 0000000050E8: 803C50FF 00000100
	s_cmp_lt_u32 s60, s81                                      // 0000000050F0: BF0A513C
	s_cselect_b32 s58, s58, 0                                  // 0000000050F4: 853A803A
	v_mfma_f32_16x16x32_fp8_fp8 v[8:11], a[20:21], a[4:5], v[8:11]// 0000000050F8: D3F30008 1C220914
	ds_read_b128 a[8:11], v2 offset:4352                       // 000000005100: DBFE1100 08000002
	ds_read_b128 a[12:15], v2 offset:4416                      // 000000005108: DBFE1140 0C000002
	s_add_u32 s60, 0x100, s80                                  // 000000005110: 803C50FF 00000100
	s_cmp_lt_u32 s60, s81                                      // 000000005118: BF0A513C
	s_cselect_b32 s83, s83, 0                                  // 00000000511C: 85538053
	s_cselect_b32 s4, s4, 0                                    // 000000005120: 85048004
	v_mfma_f32_16x16x32_fp8_fp8 v[8:11], a[22:23], a[6:7], v[8:11]// 000000005124: D3F30008 1C220D16
	s_add_u32 s24, s58, s24                                    // 00000000512C: 8018183A
	s_addc_u32 s25, 0, s25                                     // 000000005130: 82191980
	v_mfma_f32_16x16x32_fp8_fp8 v[12:15], a[24:25], a[0:1], 0  // 000000005134: D3F3000C 1A020118
	buffer_load_dwordx4 a[52:55], v36, s[84:87], 0 offen offset:1024// 00000000513C: E05C1400 80953424
	s_add_u32 s20, s57, s20                                    // 000000005144: 80141439
	s_addc_u32 s21, 0, s21                                     // 000000005148: 82151580
	s_add_u32 s28, s3, s28                                     // 00000000514C: 801C1C03
	s_addc_u32 s29, 0, s29                                     // 000000005150: 821D1D80
	v_mfma_f32_16x16x32_fp8_fp8 v[12:15], a[26:27], a[2:3], v[12:15]// 000000005154: D3F3000C 1C32051A
	v_mfma_f32_16x16x32_fp8_fp8 v[12:15], a[28:29], a[4:5], v[12:15]// 00000000515C: D3F3000C 1C32091C
	s_add_u32 s32, s4, s32                                     // 000000005164: 80202004
	s_addc_u32 s33, 0, s33                                     // 000000005168: 82212180
	v_mfma_f32_16x16x32_fp8_fp8 v[12:15], a[30:31], a[6:7], v[12:15]// 00000000516C: D3F3000C 1C320D1E
	v_fma_f32 v48, v8, v4, v48                                 // 000000005174: D1CB0030 04C20908
	v_fma_f32 v49, v9, v4, v49                                 // 00000000517C: D1CB0031 04C60909
	v_fma_f32 v50, v10, v4, v50                                // 000000005184: D1CB0032 04CA090A
	v_fma_f32 v51, v11, v4, v51                                // 00000000518C: D1CB0033 04CE090B
	v_fma_f32 v52, v12, v4, v52                                // 000000005194: D1CB0034 04D2090C
	v_fma_f32 v53, v13, v4, v53                                // 00000000519C: D1CB0035 04D6090D
	v_fma_f32 v54, v14, v4, v54                                // 0000000051A4: D1CB0036 04DA090E
	v_fma_f32 v55, v15, v4, v55                                // 0000000051AC: D1CB0037 04DE090F
	buffer_load_dwordx4 a[56:59], v37, s[84:87], 0 offen       // 0000000051B4: E05C1000 80953825
	buffer_load_dwordx4 a[60:63], v37, s[84:87], 0 offen offset:1024// 0000000051BC: E05C1400 80953C25
	s_add_u32 s84, s83, s84                                    // 0000000051C4: 80545453
	s_addc_u32 s85, 0, s85                                     // 0000000051C8: 82555580
	s_addk_i32 s80, 0x80                                       // 0000000051CC: B7500080
	s_cmp_lt_i32 s80, s81                                      // 0000000051D0: BF045150
	s_cbranch_scc0 label_0A7D                                  // 0000000051D4: BF840084
	s_waitcnt vmcnt(8) lgkmcnt(0)                              // 0000000051D8: BF8C0078
	v_mul_f32_dpp v4, v26, v33 row_newbcast:0 row_mask:0xf bank_mask:0xf// 0000000051DC: 0A0842FA FF01501A
	v_mfma_f32_16x16x32_fp8_fp8 v[8:11], a[32:33], a[8:9], 0   // 0000000051E4: D3F30008 1A021120
	buffer_load_dword v24, v22, s[32:35], 0 offen              // 0000000051EC: E0501000 80081816
	buffer_load_dwordx4 a[16:19], v36, s[24:27], 0 offen       // 0000000051F4: E05C1000 80861024
	v_mfma_f32_16x16x32_fp8_fp8 v[8:11], a[34:35], a[10:11], v[8:11]// 0000000051FC: D3F30008 1C221522
	v_mfma_f32_16x16x32_fp8_fp8 v[8:11], a[36:37], a[12:13], v[8:11]// 000000005204: D3F30008 1C221924
	v_mfma_f32_16x16x32_fp8_fp8 v[8:11], a[38:39], a[14:15], v[8:11]// 00000000520C: D3F30008 1C221D26
	v_mfma_f32_16x16x32_fp8_fp8 v[12:15], a[40:41], a[8:9], 0  // 000000005214: D3F3000C 1A021128
	buffer_load_dwordx4 a[20:23], v36, s[24:27], 0 offen offset:1024// 00000000521C: E05C1400 80861424
	v_mfma_f32_16x16x32_fp8_fp8 v[12:15], a[42:43], a[10:11], v[12:15]// 000000005224: D3F3000C 1C32152A
	v_mfma_f32_16x16x32_fp8_fp8 v[12:15], a[44:45], a[12:13], v[12:15]// 00000000522C: D3F3000C 1C32192C
	v_mfma_f32_16x16x32_fp8_fp8 v[12:15], a[46:47], a[14:15], v[12:15]// 000000005234: D3F3000C 1C321D2E
	v_fma_f32 v40, v8, v4, v40                                 // 00000000523C: D1CB0028 04A20908
	v_fma_f32 v41, v9, v4, v41                                 // 000000005244: D1CB0029 04A60909
	v_fma_f32 v42, v10, v4, v42                                // 00000000524C: D1CB002A 04AA090A
	v_fma_f32 v43, v11, v4, v43                                // 000000005254: D1CB002B 04AE090B
	v_fma_f32 v44, v12, v4, v44                                // 00000000525C: D1CB002C 04B2090C
	v_fma_f32 v45, v13, v4, v45                                // 000000005264: D1CB002D 04B6090D
	v_fma_f32 v46, v14, v4, v46                                // 00000000526C: D1CB002E 04BA090E
	v_fma_f32 v47, v15, v4, v47                                // 000000005274: D1CB002F 04BE090F
	buffer_load_dwordx4 a[24:27], v37, s[24:27], 0 offen       // 00000000527C: E05C1000 80861825
	buffer_load_dwordx4 a[28:31], v37, s[24:27], 0 offen offset:1024// 000000005284: E05C1400 80861C25
	buffer_load_dword v34, s[20:23], 0 offen lds               // 00000000528C: E0511000 80050022
	s_add_u32 m0, 0x100, s49                                   // 000000005294: 807C31FF 00000100
	buffer_load_dword v35, s[20:23], 0 offen lds               // 00000000529C: E0511000 80050023
	s_add_u32 m0, 0, s50                                       // 0000000052A4: 807C3280
	buffer_load_dword v32, v30, s[28:31], 0 offen              // 0000000052A8: E0501000 8007201E
	s_waitcnt vmcnt(8)                                         // 0000000052B0: BF8C0F78
	s_barrier                                                  // 0000000052B4: BF8A0000
	v_mul_f32_dpp v4, v29, v33 row_newbcast:0 row_mask:0xf bank_mask:0xf// 0000000052B8: 0A0842FA FF01501D
	v_mfma_f32_16x16x32_fp8_fp8 v[8:11], a[48:49], a[8:9], 0   // 0000000052C0: D3F30008 1A021130
	buffer_load_dword v27, v23, s[32:35], 0 offen              // 0000000052C8: E0501000 80081B17
	buffer_load_dwordx4 a[32:35], v36, s[84:87], 0 offen       // 0000000052D0: E05C1000 80952024
	s_add_u32 s60, 0x180, s80                                  // 0000000052D8: 803C50FF 00000180
	s_cmp_lt_u32 s60, s81                                      // 0000000052E0: BF0A513C
	s_cselect_b32 s57, s57, 0                                  // 0000000052E4: 85398039
	s_cselect_b32 s3, s3, 0                                    // 0000000052E8: 85038003
	v_mfma_f32_16x16x32_fp8_fp8 v[8:11], a[50:51], a[10:11], v[8:11]// 0000000052EC: D3F30008 1C221532
	s_add_u32 s60, 0x100, s80                                  // 0000000052F4: 803C50FF 00000100
	s_cmp_lt_u32 s60, s81                                      // 0000000052FC: BF0A513C
	s_cselect_b32 s58, s58, 0                                  // 000000005300: 853A803A
	v_mfma_f32_16x16x32_fp8_fp8 v[8:11], a[52:53], a[12:13], v[8:11]// 000000005304: D3F30008 1C221934
	ds_read_b128 a[0:3], v2                                    // 00000000530C: DBFE0000 00000002
	ds_read_b128 a[4:7], v2 offset:64                          // 000000005314: DBFE0040 04000002
	s_add_u32 s60, 0x100, s80                                  // 00000000531C: 803C50FF 00000100
	s_cmp_lt_u32 s60, s81                                      // 000000005324: BF0A513C
	s_cselect_b32 s83, s83, 0                                  // 000000005328: 85538053
	s_cselect_b32 s4, s4, 0                                    // 00000000532C: 85048004
	v_mfma_f32_16x16x32_fp8_fp8 v[8:11], a[54:55], a[14:15], v[8:11]// 000000005330: D3F30008 1C221D36
	s_add_u32 s24, s58, s24                                    // 000000005338: 8018183A
	s_addc_u32 s25, 0, s25                                     // 00000000533C: 82191980
	v_mfma_f32_16x16x32_fp8_fp8 v[12:15], a[56:57], a[8:9], 0  // 000000005340: D3F3000C 1A021138
	buffer_load_dwordx4 a[36:39], v36, s[84:87], 0 offen offset:1024// 000000005348: E05C1400 80952424
	s_add_u32 s20, s57, s20                                    // 000000005350: 80141439
	s_addc_u32 s21, 0, s21                                     // 000000005354: 82151580
	s_add_u32 s28, s3, s28                                     // 000000005358: 801C1C03
	s_addc_u32 s29, 0, s29                                     // 00000000535C: 821D1D80
	v_mfma_f32_16x16x32_fp8_fp8 v[12:15], a[58:59], a[10:11], v[12:15]// 000000005360: D3F3000C 1C32153A
	v_mfma_f32_16x16x32_fp8_fp8 v[12:15], a[60:61], a[12:13], v[12:15]// 000000005368: D3F3000C 1C32193C
	s_add_u32 s32, s4, s32                                     // 000000005370: 80202004
	s_addc_u32 s33, 0, s33                                     // 000000005374: 82212180
	v_mfma_f32_16x16x32_fp8_fp8 v[12:15], a[62:63], a[14:15], v[12:15]// 000000005378: D3F3000C 1C321D3E
	v_fma_f32 v48, v8, v4, v48                                 // 000000005380: D1CB0030 04C20908
	v_fma_f32 v49, v9, v4, v49                                 // 000000005388: D1CB0031 04C60909
	v_fma_f32 v50, v10, v4, v50                                // 000000005390: D1CB0032 04CA090A
	v_fma_f32 v51, v11, v4, v51                                // 000000005398: D1CB0033 04CE090B
	v_fma_f32 v52, v12, v4, v52                                // 0000000053A0: D1CB0034 04D2090C
	v_fma_f32 v53, v13, v4, v53                                // 0000000053A8: D1CB0035 04D6090D
	v_fma_f32 v54, v14, v4, v54                                // 0000000053B0: D1CB0036 04DA090E
	v_fma_f32 v55, v15, v4, v55                                // 0000000053B8: D1CB0037 04DE090F
	buffer_load_dwordx4 a[40:43], v37, s[84:87], 0 offen       // 0000000053C0: E05C1000 80952825
	buffer_load_dwordx4 a[44:47], v37, s[84:87], 0 offen offset:1024// 0000000053C8: E05C1400 80952C25
	s_add_u32 s84, s83, s84                                    // 0000000053D0: 80545453
	s_addc_u32 s85, 0, s85                                     // 0000000053D4: 82555580
	s_addk_i32 s80, 0x80                                       // 0000000053D8: B7500080
	s_cmp_lt_i32 s80, s81                                      // 0000000053DC: BF045150
	s_cbranch_scc0 label_0A7D                                  // 0000000053E0: BF840001
	s_branch label_076A                                        // 0000000053E4: BF82FCED

00000000000053e8 <label_0A7D>:
	s_cmp_eq_u32 s88, 0                                        // 0000000053E8: BF068058
	s_cbranch_scc0 label_0C17                                  // 0000000053EC: BF840198
	s_cmp_eq_u32 s89, 0                                        // 0000000053F0: BF068059
	s_cbranch_scc1 label_0AD6                                  // 0000000053F4: BF850055
	v_mov_b32_e32 v8, v1                                       // 0000000053F8: 7E100301
	v_mov_b32_e32 v9, v1                                       // 0000000053FC: 7E120301
	s_mov_b32 s60, s6                                          // 000000005400: BEBC0006
	s_mov_b32 s61, s6                                          // 000000005404: BEBD0006
	v_pk_mul_f32 v[4:5], v[40:41], v[40:41]                    // 000000005408: D3B14004 18025128
	v_pk_mul_f32 v[6:7], v[42:43], v[42:43]                    // 000000005410: D3B14006 1802552A
	v_pk_fma_f32 v[4:5], v[4:5], s[78:79], v[8:9]              // 000000005418: D3B04004 1C209D04
	v_pk_fma_f32 v[6:7], v[6:7], s[78:79], v[8:9]              // 000000005420: D3B04006 1C209D06
	v_pk_mul_f32 v[4:5], v[4:5], v[40:41]                      // 000000005428: D3B14004 18025104
	v_pk_mul_f32 v[6:7], v[6:7], v[42:43]                      // 000000005430: D3B14006 18025506
	v_pk_mul_f32 v[4:5], v[4:5], s[60:61]                      // 000000005438: D3B14004 18007904
	v_pk_mul_f32 v[6:7], v[6:7], s[60:61]                      // 000000005440: D3B14006 18007906
	v_exp_f32_e32 v4, v4                                       // 000000005448: 7E084104
	v_exp_f32_e32 v5, v5                                       // 00000000544C: 7E0A4105
	v_exp_f32_e32 v6, v6                                       // 000000005450: 7E0C4106
	v_exp_f32_e32 v7, v7                                       // 000000005454: 7E0E4107
	v_add_f32_e64 v4, v4, 1.0                                  // 000000005458: D1010004 0001E504
	v_add_f32_e64 v5, v5, 1.0                                  // 000000005460: D1010005 0001E505
	v_add_f32_e64 v6, v6, 1.0                                  // 000000005468: D1010006 0001E506
	v_add_f32_e64 v7, v7, 1.0                                  // 000000005470: D1010007 0001E507
	v_rcp_f32_e32 v4, v4                                       // 000000005478: 7E084504
	v_rcp_f32_e32 v5, v5                                       // 00000000547C: 7E0A4505
	v_rcp_f32_e32 v6, v6                                       // 000000005480: 7E0C4506
	v_rcp_f32_e32 v7, v7                                       // 000000005484: 7E0E4507
	v_mul_f32_e32 v40, v40, v4                                 // 000000005488: 0A500928
	v_mul_f32_e32 v41, v41, v5                                 // 00000000548C: 0A520B29
	v_mul_f32_e32 v42, v42, v6                                 // 000000005490: 0A540D2A
	v_mul_f32_e32 v43, v43, v7                                 // 000000005494: 0A560F2B
	v_mul_f32_e32 v40, v40, v48                                // 000000005498: 0A506128
	v_mul_f32_e32 v41, v41, v49                                // 00000000549C: 0A526329
	v_mul_f32_e32 v42, v42, v50                                // 0000000054A0: 0A54652A
	v_mul_f32_e32 v43, v43, v51                                // 0000000054A4: 0A56672B
	v_pk_mul_f32 v[4:5], v[44:45], v[44:45]                    // 0000000054A8: D3B14004 1802592C
	v_pk_mul_f32 v[6:7], v[46:47], v[46:47]                    // 0000000054B0: D3B14006 18025D2E
	v_pk_fma_f32 v[4:5], v[4:5], s[78:79], v[8:9]              // 0000000054B8: D3B04004 1C209D04
	v_pk_fma_f32 v[6:7], v[6:7], s[78:79], v[8:9]              // 0000000054C0: D3B04006 1C209D06
	v_pk_mul_f32 v[4:5], v[4:5], v[44:45]                      // 0000000054C8: D3B14004 18025904
	v_pk_mul_f32 v[6:7], v[6:7], v[46:47]                      // 0000000054D0: D3B14006 18025D06
	v_pk_mul_f32 v[4:5], v[4:5], s[60:61]                      // 0000000054D8: D3B14004 18007904
	v_pk_mul_f32 v[6:7], v[6:7], s[60:61]                      // 0000000054E0: D3B14006 18007906
	v_exp_f32_e32 v4, v4                                       // 0000000054E8: 7E084104
	v_exp_f32_e32 v5, v5                                       // 0000000054EC: 7E0A4105
	v_exp_f32_e32 v6, v6                                       // 0000000054F0: 7E0C4106
	v_exp_f32_e32 v7, v7                                       // 0000000054F4: 7E0E4107
	v_add_f32_e64 v4, v4, 1.0                                  // 0000000054F8: D1010004 0001E504
	v_add_f32_e64 v5, v5, 1.0                                  // 000000005500: D1010005 0001E505
	v_add_f32_e64 v6, v6, 1.0                                  // 000000005508: D1010006 0001E506
	v_add_f32_e64 v7, v7, 1.0                                  // 000000005510: D1010007 0001E507
	v_rcp_f32_e32 v4, v4                                       // 000000005518: 7E084504
	v_rcp_f32_e32 v5, v5                                       // 00000000551C: 7E0A4505
	v_rcp_f32_e32 v6, v6                                       // 000000005520: 7E0C4506
	v_rcp_f32_e32 v7, v7                                       // 000000005524: 7E0E4507
	v_mul_f32_e32 v44, v44, v4                                 // 000000005528: 0A58092C
	v_mul_f32_e32 v45, v45, v5                                 // 00000000552C: 0A5A0B2D
	v_mul_f32_e32 v46, v46, v6                                 // 000000005530: 0A5C0D2E
	v_mul_f32_e32 v47, v47, v7                                 // 000000005534: 0A5E0F2F
	v_mul_f32_e32 v44, v44, v52                                // 000000005538: 0A58692C
	v_mul_f32_e32 v45, v45, v53                                // 00000000553C: 0A5A6B2D
	v_mul_f32_e32 v46, v46, v54                                // 000000005540: 0A5C6D2E
	v_mul_f32_e32 v47, v47, v55                                // 000000005544: 0A5E6F2F
	s_branch label_0B16                                        // 000000005548: BF820040

000000000000554c <label_0AD6>:
	v_mul_f32_e64 v4, -v40, s6                                 // 00000000554C: D1050004 20000D28
	v_mul_f32_e64 v5, -v41, s6                                 // 000000005554: D1050005 20000D29
	v_mul_f32_e64 v6, -v42, s6                                 // 00000000555C: D1050006 20000D2A
	v_mul_f32_e64 v7, -v43, s6                                 // 000000005564: D1050007 20000D2B
	v_exp_f32_e32 v4, v4                                       // 00000000556C: 7E084104
	v_exp_f32_e32 v5, v5                                       // 000000005570: 7E0A4105
	v_exp_f32_e32 v6, v6                                       // 000000005574: 7E0C4106
	v_exp_f32_e32 v7, v7                                       // 000000005578: 7E0E4107
	v_add_f32_e64 v4, v4, 1.0                                  // 00000000557C: D1010004 0001E504
	v_add_f32_e64 v5, v5, 1.0                                  // 000000005584: D1010005 0001E505
	v_add_f32_e64 v6, v6, 1.0                                  // 00000000558C: D1010006 0001E506
	v_add_f32_e64 v7, v7, 1.0                                  // 000000005594: D1010007 0001E507
	v_rcp_f32_e32 v4, v4                                       // 00000000559C: 7E084504
	v_rcp_f32_e32 v5, v5                                       // 0000000055A0: 7E0A4505
	v_rcp_f32_e32 v6, v6                                       // 0000000055A4: 7E0C4506
	v_rcp_f32_e32 v7, v7                                       // 0000000055A8: 7E0E4507
	v_mul_f32_e32 v40, v40, v4                                 // 0000000055AC: 0A500928
	v_mul_f32_e32 v41, v41, v5                                 // 0000000055B0: 0A520B29
	v_mul_f32_e32 v42, v42, v6                                 // 0000000055B4: 0A540D2A
	v_mul_f32_e32 v43, v43, v7                                 // 0000000055B8: 0A560F2B
	v_mul_f32_e32 v40, v40, v48                                // 0000000055BC: 0A506128
	v_mul_f32_e32 v41, v41, v49                                // 0000000055C0: 0A526329
	v_mul_f32_e32 v42, v42, v50                                // 0000000055C4: 0A54652A
	v_mul_f32_e32 v43, v43, v51                                // 0000000055C8: 0A56672B
	v_mul_f32_e64 v4, -v44, s6                                 // 0000000055CC: D1050004 20000D2C
	v_mul_f32_e64 v5, -v45, s6                                 // 0000000055D4: D1050005 20000D2D
	v_mul_f32_e64 v6, -v46, s6                                 // 0000000055DC: D1050006 20000D2E
	v_mul_f32_e64 v7, -v47, s6                                 // 0000000055E4: D1050007 20000D2F
	v_exp_f32_e32 v4, v4                                       // 0000000055EC: 7E084104
	v_exp_f32_e32 v5, v5                                       // 0000000055F0: 7E0A4105
	v_exp_f32_e32 v6, v6                                       // 0000000055F4: 7E0C4106
	v_exp_f32_e32 v7, v7                                       // 0000000055F8: 7E0E4107
	v_add_f32_e64 v4, v4, 1.0                                  // 0000000055FC: D1010004 0001E504
	v_add_f32_e64 v5, v5, 1.0                                  // 000000005604: D1010005 0001E505
	v_add_f32_e64 v6, v6, 1.0                                  // 00000000560C: D1010006 0001E506
	v_add_f32_e64 v7, v7, 1.0                                  // 000000005614: D1010007 0001E507
	v_rcp_f32_e32 v4, v4                                       // 00000000561C: 7E084504
	v_rcp_f32_e32 v5, v5                                       // 000000005620: 7E0A4505
	v_rcp_f32_e32 v6, v6                                       // 000000005624: 7E0C4506
	v_rcp_f32_e32 v7, v7                                       // 000000005628: 7E0E4507
	v_mul_f32_e32 v44, v44, v4                                 // 00000000562C: 0A58092C
	v_mul_f32_e32 v45, v45, v5                                 // 000000005630: 0A5A0B2D
	v_mul_f32_e32 v46, v46, v6                                 // 000000005634: 0A5C0D2E
	v_mul_f32_e32 v47, v47, v7                                 // 000000005638: 0A5E0F2F
	v_mul_f32_e32 v44, v44, v52                                // 00000000563C: 0A58692C
	v_mul_f32_e32 v45, v45, v53                                // 000000005640: 0A5A6B2D
	v_mul_f32_e32 v46, v46, v54                                // 000000005644: 0A5C6D2E
	v_mul_f32_e32 v47, v47, v55                                // 000000005648: 0A5E6F2F

000000000000564c <label_0B16>:
	s_cmp_eq_u32 s7, 0                                         // 00000000564C: BF068007
	s_cbranch_scc0 label_0B1D                                  // 000000005650: BF840005
	v_and_b32_e32 v4, 15, v0                                   // 000000005654: 2608008F
	v_lshlrev_b32_e32 v4, 2, v4                                // 000000005658: 24080882
	buffer_load_dword v30, v4, s[12:15], 0 offen               // 00000000565C: E0501000 80031E04
	v_add_u32_e32 v4, 64, v4                                   // 000000005664: 680808C0

0000000000005668 <label_0B1D>:
	v_lshlrev_b32_e32 v4, 2, v0                                // 000000005668: 24080082
	s_mul_i32 s60, 0x100, s7                                   // 00000000566C: 923C07FF 00000100
	v_add_u32_e32 v49, s60, v4                                 // 000000005674: 6862083C
	v_and_b32_e32 v4, 15, v0                                   // 000000005678: 2608008F
	v_lshlrev_b32_e32 v50, 2, v4                               // 00000000567C: 24640882
	s_waitcnt lgkmcnt(0)                                       // 000000005680: BF8CC07F
	s_barrier                                                  // 000000005684: BF8A0000
	v_mov_b32_e32 v48, 0x358637bd                              // 000000005688: 7E6002FF 358637BD
	v_max3_f32 v48, |v40|, |v41|, v48                          // 000000005690: D1D30330 04C25328
	v_max3_f32 v48, |v42|, |v43|, v48                          // 000000005698: D1D30330 04C2572A
	v_max3_f32 v48, |v44|, |v45|, v48                          // 0000000056A0: D1D30330 04C25B2C
	v_max3_f32 v48, |v46|, |v47|, v48                          // 0000000056A8: D1D30330 04C25F2E
	ds_write_b32 v49, v48                                      // 0000000056B0: D81A0000 00003031
	s_waitcnt lgkmcnt(0)                                       // 0000000056B8: BF8CC07F
	s_barrier                                                  // 0000000056BC: BF8A0000
	ds_read_b32 v4, v50                                        // 0000000056C0: D86C0000 04000032
	ds_read_b32 v5, v50 offset:64                              // 0000000056C8: D86C0040 05000032
	ds_read_b32 v6, v50 offset:128                             // 0000000056D0: D86C0080 06000032
	ds_read_b32 v7, v50 offset:192                             // 0000000056D8: D86C00C0 07000032
	ds_read_b32 v8, v50 offset:256                             // 0000000056E0: D86C0100 08000032
	ds_read_b32 v9, v50 offset:320                             // 0000000056E8: D86C0140 09000032
	ds_read_b32 v10, v50 offset:384                            // 0000000056F0: D86C0180 0A000032
	ds_read_b32 v11, v50 offset:448                            // 0000000056F8: D86C01C0 0B000032
	ds_read_b32 v12, v50 offset:512                            // 000000005700: D86C0200 0C000032
	ds_read_b32 v13, v50 offset:576                            // 000000005708: D86C0240 0D000032
	ds_read_b32 v14, v50 offset:640                            // 000000005710: D86C0280 0E000032
	ds_read_b32 v15, v50 offset:704                            // 000000005718: D86C02C0 0F000032
	ds_read_b32 v16, v50 offset:768                            // 000000005720: D86C0300 10000032
	ds_read_b32 v17, v50 offset:832                            // 000000005728: D86C0340 11000032
	ds_read_b32 v18, v50 offset:896                            // 000000005730: D86C0380 12000032
	ds_read_b32 v19, v50 offset:960                            // 000000005738: D86C03C0 13000032
	s_waitcnt lgkmcnt(0)                                       // 000000005740: BF8CC07F
	s_barrier                                                  // 000000005744: BF8A0000
	v_max3_f32 v48, |v4|, |v5|, v48                            // 000000005748: D1D30330 04C20B04
	v_max3_f32 v48, |v6|, |v7|, v48                            // 000000005750: D1D30330 04C20F06
	v_max3_f32 v48, |v8|, |v9|, v48                            // 000000005758: D1D30330 04C21308
	v_max3_f32 v48, |v10|, |v11|, v48                          // 000000005760: D1D30330 04C2170A
	v_max3_f32 v48, |v12|, |v13|, v48                          // 000000005768: D1D30330 04C21B0C
	v_max3_f32 v48, |v14|, |v15|, v48                          // 000000005770: D1D30330 04C21F0E
	v_max3_f32 v48, |v16|, |v17|, v48                          // 000000005778: D1D30330 04C22310
	v_max3_f32 v48, |v18|, |v19|, v48                          // 000000005780: D1D30330 04C22712
	v_rcp_f32_e32 v48, v48                                     // 000000005788: 7E604530
	v_mov_b32_e32 v4, 0x43700000                               // 00000000578C: 7E0802FF 43700000
	v_mul_f32_e32 v48, v4, v48                                 // 000000005794: 0A606104
	v_mov_b32_e32 v4, v48                                      // 000000005798: 7E080330
	v_mov_b32_e32 v5, v4                                       // 00000000579C: 7E0A0304
	v_pk_mul_f32 v[40:41], v[4:5], v[40:41]                    // 0000000057A0: D3B14028 18025104
	v_pk_mul_f32 v[42:43], v[4:5], v[42:43]                    // 0000000057A8: D3B1402A 18025504
	v_cvt_pk_fp8_f32 v40, v40, v41                             // 0000000057B0: D2A20028 00025328
	v_cvt_pk_fp8_f32 v40, v42, v43 op_sel:[0,0,1]              // 0000000057B8: D2A24028 0002572A
	v_pk_mul_f32 v[44:45], v[4:5], v[44:45]                    // 0000000057C0: D3B1402C 18025904
	v_pk_mul_f32 v[46:47], v[4:5], v[46:47]                    // 0000000057C8: D3B1402E 18025D04
	v_cvt_pk_fp8_f32 v44, v44, v45                             // 0000000057D0: D2A2002C 00025B2C
	v_cvt_pk_fp8_f32 v44, v46, v47 op_sel:[0,0,1]              // 0000000057D8: D2A2402C 00025F2E
	v_rcp_f32_e32 v48, v48                                     // 0000000057E0: 7E604530
	v_lshrrev_b32_e32 v4, 5, v0                                // 0000000057E4: 20080085
	v_mul_lo_u32 v20, 34, v4                                   // 0000000057E8: D2850014 000208A2
	v_and_b32_e32 v4, 31, v0                                   // 0000000057F0: 2608009F
	v_lshrrev_b32_e32 v5, 4, v4                                // 0000000057F4: 200A0884
	v_add_u32_e32 v20, v5, v20                                 // 0000000057F8: 68282905
	v_and_b32_e32 v4, 15, v0                                   // 0000000057FC: 2608008F
	v_mul_lo_u32 v5, 2, v4                                     // 000000005800: D2850005 00020882
	v_add_u32_e32 v20, v5, v20                                 // 000000005808: 68282905
	s_mul_i32 s60, s7, 0x44                                    // 00000000580C: 923CFF07 00000044
	v_add_u32_e32 v20, s60, v20                                // 000000005814: 6828283C
	v_lshlrev_b32_e32 v20, 2, v20                              // 000000005818: 24282882
	ds_write_b32 v20, v40                                      // 00000000581C: D81A0000 00002814
	ds_write_b32 v20, v44 offset:1088                          // 000000005824: D81A0440 00002C14
	v_lshrrev_b32_e32 v4, 5, v0                                // 00000000582C: 20080085
	v_xor_b32_e32 v5, 1, v4                                    // 000000005830: 2A0A0881
	s_mul_i32 s60, s65, 1                                      // 000000005834: 923C8141
	s_cmp_eq_u32 s88, 0                                        // 000000005838: BF068058
	s_cselect_b32 s61, 1, 8                                    // 00000000583C: 853D8881
	s_mul_i32 s60, s61, s60                                    // 000000005840: 923C3C3D
	v_readlane_b32 s82, v3, 0                                  // 000000005844: D2890052 00010103
	s_lshr_b32 s61, s82, 24                                    // 00000000584C: 8F3D9852
	s_and_b32 s82, s82, 0xffffff                               // 000000005850: 8652FF52 00FFFFFF
	s_mul_i32 s82, s82, s71                                    // 000000005858: 92524752
	s_mul_i32 s61, s60, s61                                    // 00000000585C: 923D3D3C
	s_add_u32 s82, s82, s61                                    // 000000005860: 80523D52
	v_mul_lo_u32 v6, v5, s82                                   // 000000005864: D2850006 0000A505
	v_readlane_b32 s82, v3, 1                                  // 00000000586C: D2890052 00010303
	s_lshr_b32 s61, s82, 24                                    // 000000005874: 8F3D9852
	s_and_b32 s82, s82, 0xffffff                               // 000000005878: 8652FF52 00FFFFFF
	s_mul_i32 s82, s82, s71                                    // 000000005880: 92524752
	s_mul_i32 s61, s60, s61                                    // 000000005884: 923D3D3C
	s_add_u32 s82, s82, s61                                    // 000000005888: 80523D52
	v_mul_lo_u32 v7, v4, s82                                   // 00000000588C: D2850007 0000A504
	v_add_u32_e32 v34, v6, v7                                  // 000000005894: 68440F06
	v_readlane_b32 s82, v3, 2                                  // 000000005898: D2890052 00010503
	s_lshr_b32 s61, s82, 24                                    // 0000000058A0: 8F3D9852
	s_and_b32 s82, s82, 0xffffff                               // 0000000058A4: 8652FF52 00FFFFFF
	s_mul_i32 s82, s82, s71                                    // 0000000058AC: 92524752
	s_mul_i32 s61, s60, s61                                    // 0000000058B0: 923D3D3C
	s_add_u32 s82, s82, s61                                    // 0000000058B4: 80523D52
	v_mul_lo_u32 v6, v5, s82                                   // 0000000058B8: D2850006 0000A505
	v_readlane_b32 s82, v3, 3                                  // 0000000058C0: D2890052 00010703
	s_lshr_b32 s61, s82, 24                                    // 0000000058C8: 8F3D9852
	s_and_b32 s82, s82, 0xffffff                               // 0000000058CC: 8652FF52 00FFFFFF
	s_mul_i32 s82, s82, s71                                    // 0000000058D4: 92524752
	s_mul_i32 s61, s60, s61                                    // 0000000058D8: 923D3D3C
	s_add_u32 s82, s82, s61                                    // 0000000058DC: 80523D52
	v_mul_lo_u32 v7, v4, s82                                   // 0000000058E0: D2850007 0000A504
	v_add_u32_e32 v35, v6, v7                                  // 0000000058E8: 68460F06
	v_and_b32_e32 v4, 31, v0                                   // 0000000058EC: 2608009F
	v_lshrrev_b32_e32 v4, 1, v4                                // 0000000058F0: 20080881
	s_cmp_eq_u32 s88, 0                                        // 0000000058F4: BF068058
	s_cselect_b32 s61, 2, 4                                    // 0000000058F8: 853D8482
	v_mul_lo_u32 v4, v4, s61                                   // 0000000058FC: D2850004 00007B04
	v_and_b32_e64 v5, v0, 1                                    // 000000005904: D1130005 00010300
	v_add_u32_e32 v4, v4, v5                                   // 00000000590C: 68080B04
	v_lshlrev_b32_e32 v4, 2, v4                                // 000000005910: 24080882
	v_add_u32_e32 v34, v34, v4                                 // 000000005914: 68440922
	v_add_u32_e32 v35, v35, v4                                 // 000000005918: 68460923
	s_waitcnt lgkmcnt(0)                                       // 00000000591C: BF8CC07F
	s_barrier                                                  // 000000005920: BF8A0000
	ds_read_b32 v40, v21                                       // 000000005924: D86C0000 28000015
	ds_read_b32 v41, v21 offset:64                             // 00000000592C: D86C0040 29000015
	s_waitcnt lgkmcnt(0)                                       // 000000005934: BF8CC07F
	s_mov_b32 s36, -1                                          // 000000005938: BEA400C1
	s_mov_b32 s37, -1                                          // 00000000593C: BEA500C1
	v_mov_b32_e32 v7, 0                                        // 000000005940: 7E0E0280
	s_or_b32 s9, s9, 0x40000                                   // 000000005944: 8709FF09 00040000
	s_mov_b64 exec, s[36:37]                                   // 00000000594C: BEFE0124
	v_mov_b32_e32 v6, v34                                      // 000000005950: 7E0C0322
	s_mov_b64 s[60:61], 0                                      // 000000005954: BEBC0180
	v_readlane_b32 s82, v3, 0                                  // 000000005958: D2890052 00010103
	s_and_b32 s82, s82, 0xffffff                               // 000000005960: 8652FF52 00FFFFFF
	s_cmp_lt_u32 s82, s66                                      // 000000005968: BF0A4252
	s_cselect_b32 s20, s36, s60                                // 00000000596C: 85143C24
	v_readlane_b32 s82, v3, 1                                  // 000000005970: D2890052 00010303
	s_and_b32 s82, s82, 0xffffff                               // 000000005978: 8652FF52 00FFFFFF
	s_cmp_lt_u32 s82, s66                                      // 000000005980: BF0A4252
	s_cselect_b32 s21, s36, s60                                // 000000005984: 85153C24
	s_mov_b64 exec, s[20:21]                                   // 000000005988: BEFE0114
	buffer_store_dword v40, v6, s[8:11], 0 offen               // 00000000598C: E0701000 80022806
	s_mov_b64 exec, s[36:37]                                   // 000000005994: BEFE0124
	v_mov_b32_e32 v6, v35                                      // 000000005998: 7E0C0323
	s_mov_b64 s[60:61], 0                                      // 00000000599C: BEBC0180
	v_readlane_b32 s82, v3, 2                                  // 0000000059A0: D2890052 00010503
	s_and_b32 s82, s82, 0xffffff                               // 0000000059A8: 8652FF52 00FFFFFF
	s_cmp_lt_u32 s82, s66                                      // 0000000059B0: BF0A4252
	s_cselect_b32 s20, s36, s60                                // 0000000059B4: 85143C24
	v_readlane_b32 s82, v3, 3                                  // 0000000059B8: D2890052 00010703
	s_and_b32 s82, s82, 0xffffff                               // 0000000059C0: 8652FF52 00FFFFFF
	s_cmp_lt_u32 s82, s66                                      // 0000000059C8: BF0A4252
	s_cselect_b32 s21, s36, s60                                // 0000000059CC: 85153C24
	s_mov_b64 exec, s[20:21]                                   // 0000000059D0: BEFE0114
	buffer_store_dword v41, v6, s[8:11], 0 offen               // 0000000059D4: E0701000 80022906
	s_mov_b64 exec, s[36:37]                                   // 0000000059DC: BEFE0124
	s_cmp_eq_u32 s7, 0                                         // 0000000059E0: BF068007
	s_cbranch_scc0 label_0D3D                                  // 0000000059E4: BF840140
	s_waitcnt vmcnt(2)                                         // 0000000059E8: BF8C0F72
	s_mov_b32 s8, s90                                          // 0000000059EC: BE88005A
	s_mov_b32 s9, s91                                          // 0000000059F0: BE89005B
	s_mul_i32 s60, s66, s71                                    // 0000000059F4: 923C4742
	s_add_u32 s8, s60, s8                                      // 0000000059F8: 8008083C
	s_addc_u32 s9, 0, s9                                       // 0000000059FC: 82090980
	s_lshr_b32 s71, s71, 5                                     // 000000005A00: 8F478547
	s_mul_i32 s60, s66, s71                                    // 000000005A04: 923C4742
	s_mov_b32 s10, s60                                         // 000000005A08: BE8A003C
	s_lshr_b32 s61, s65, 5                                     // 000000005A0C: 8F3D8541
	s_mul_i32 s60, s2, 4                                       // 000000005A10: 923C8402
	v_lshrrev_b32_e32 v4, 24, v30                              // 000000005A14: 20083C98
	v_mul_lo_u32 v4, s61, v4                                   // 000000005A18: D2850004 0002083D
	v_and_b32_e32 v30, 0xffffff, v30                           // 000000005A20: 263C3CFF 00FFFFFF
	v_mul_lo_u32 v30, s71, v30                                 // 000000005A28: D285001E 00023C47
	v_add_u32_e32 v30, v4, v30                                 // 000000005A30: 683C3D04
	v_add_u32_e32 v30, s60, v30                                // 000000005A34: 683C3C3C
	s_mov_b64 exec, 0xffff                                     // 000000005A38: BEFE01FF 0000FFFF
	buffer_store_dword v48, v30, s[8:11], 0 offen              // 000000005A40: E0701000 8002301E
	s_mov_b64 exec, s[36:37]                                   // 000000005A48: BEFE0124
	s_branch label_0D3D                                        // 000000005A4C: BF820126

0000000000005a50 <label_0C17>:
	ds_write_b64 v20, v[40:41]                                 // 000000005A50: D89A0000 00002814
	ds_write_b64 v20, v[44:45] offset:2176                     // 000000005A58: D89A0880 00002C14
	v_lshrrev_b32_e32 v4, 5, v0                                // 000000005A60: 20080085
	v_xor_b32_e32 v5, 1, v4                                    // 000000005A64: 2A0A0881
	s_mul_i32 s60, s65, 1                                      // 000000005A68: 923C8141
	s_cmp_eq_u32 s88, 0                                        // 000000005A6C: BF068058
	s_cselect_b32 s61, 1, 8                                    // 000000005A70: 853D8881
	s_mul_i32 s60, s61, s60                                    // 000000005A74: 923C3C3D
	v_readlane_b32 s82, v3, 0                                  // 000000005A78: D2890052 00010103
	s_lshr_b32 s61, s82, 24                                    // 000000005A80: 8F3D9852
	s_and_b32 s82, s82, 0xffffff                               // 000000005A84: 8652FF52 00FFFFFF
	s_mul_i32 s82, s82, s71                                    // 000000005A8C: 92524752
	s_mul_i32 s61, s60, s61                                    // 000000005A90: 923D3D3C
	s_add_u32 s82, s82, s61                                    // 000000005A94: 80523D52
	v_mul_lo_u32 v6, v5, s82                                   // 000000005A98: D2850006 0000A505
	v_readlane_b32 s82, v3, 1                                  // 000000005AA0: D2890052 00010303
	s_lshr_b32 s61, s82, 24                                    // 000000005AA8: 8F3D9852
	s_and_b32 s82, s82, 0xffffff                               // 000000005AAC: 8652FF52 00FFFFFF
	s_mul_i32 s82, s82, s71                                    // 000000005AB4: 92524752
	s_mul_i32 s61, s60, s61                                    // 000000005AB8: 923D3D3C
	s_add_u32 s82, s82, s61                                    // 000000005ABC: 80523D52
	v_mul_lo_u32 v7, v4, s82                                   // 000000005AC0: D2850007 0000A504
	v_add_u32_e32 v34, v6, v7                                  // 000000005AC8: 68440F06
	v_readlane_b32 s82, v3, 2                                  // 000000005ACC: D2890052 00010503
	s_lshr_b32 s61, s82, 24                                    // 000000005AD4: 8F3D9852
	s_and_b32 s82, s82, 0xffffff                               // 000000005AD8: 8652FF52 00FFFFFF
	s_mul_i32 s82, s82, s71                                    // 000000005AE0: 92524752
	s_mul_i32 s61, s60, s61                                    // 000000005AE4: 923D3D3C
	s_add_u32 s82, s82, s61                                    // 000000005AE8: 80523D52
	v_mul_lo_u32 v6, v5, s82                                   // 000000005AEC: D2850006 0000A505
	v_readlane_b32 s82, v3, 3                                  // 000000005AF4: D2890052 00010703
	s_lshr_b32 s61, s82, 24                                    // 000000005AFC: 8F3D9852
	s_and_b32 s82, s82, 0xffffff                               // 000000005B00: 8652FF52 00FFFFFF
	s_mul_i32 s82, s82, s71                                    // 000000005B08: 92524752
	s_mul_i32 s61, s60, s61                                    // 000000005B0C: 923D3D3C
	s_add_u32 s82, s82, s61                                    // 000000005B10: 80523D52
	v_mul_lo_u32 v7, v4, s82                                   // 000000005B14: D2850007 0000A504
	v_add_u32_e32 v35, v6, v7                                  // 000000005B1C: 68460F06
	v_and_b32_e32 v4, 31, v0                                   // 000000005B20: 2608009F
	v_lshrrev_b32_e32 v4, 1, v4                                // 000000005B24: 20080881
	s_cmp_eq_u32 s88, 0                                        // 000000005B28: BF068058
	s_cselect_b32 s61, 2, 4                                    // 000000005B2C: 853D8482
	v_mul_lo_u32 v4, v4, s61                                   // 000000005B30: D2850004 00007B04
	v_and_b32_e64 v5, v0, 1                                    // 000000005B38: D1130005 00010300
	v_add_u32_e32 v4, v4, v5                                   // 000000005B40: 68080B04
	v_lshlrev_b32_e32 v4, 2, v4                                // 000000005B44: 24080882
	v_add_u32_e32 v34, v34, v4                                 // 000000005B48: 68440922
	v_add_u32_e32 v35, v35, v4                                 // 000000005B4C: 68460923
	s_waitcnt lgkmcnt(0)                                       // 000000005B50: BF8CC07F
	s_barrier                                                  // 000000005B54: BF8A0000
	ds_read_b32 v40, v21                                       // 000000005B58: D86C0000 28000015
	ds_read_b32 v41, v21 offset:64                             // 000000005B60: D86C0040 29000015
	ds_read_b32 v44, v21 offset:2176                           // 000000005B68: D86C0880 2C000015
	ds_read_b32 v45, v21 offset:2240                           // 000000005B70: D86C08C0 2D000015
	s_waitcnt lgkmcnt(0)                                       // 000000005B78: BF8CC07F
	s_mov_b32 s36, -1                                          // 000000005B7C: BEA400C1
	s_mov_b32 s37, -1                                          // 000000005B80: BEA500C1
	v_mov_b32_e32 v7, 0                                        // 000000005B84: 7E0E0280
	s_mov_b64 exec, s[36:37]                                   // 000000005B88: BEFE0124
	v_mov_b32_e32 v6, v34                                      // 000000005B8C: 7E0C0322
	s_mov_b64 s[60:61], 0                                      // 000000005B90: BEBC0180
	v_readlane_b32 s82, v3, 0                                  // 000000005B94: D2890052 00010103
	s_and_b32 s82, s82, 0xffffff                               // 000000005B9C: 8652FF52 00FFFFFF
	s_cmp_lt_u32 s82, s66                                      // 000000005BA4: BF0A4252
	s_cselect_b32 s20, s36, s60                                // 000000005BA8: 85143C24
	v_readlane_b32 s82, v3, 1                                  // 000000005BAC: D2890052 00010303
	s_and_b32 s82, s82, 0xffffff                               // 000000005BB4: 8652FF52 00FFFFFF
	s_cmp_lt_u32 s82, s66                                      // 000000005BBC: BF0A4252
	s_cselect_b32 s21, s36, s60                                // 000000005BC0: 85153C24
	s_mov_b64 exec, s[20:21]                                   // 000000005BC4: BEFE0114
	global_atomic_add_f32 v6, v40, s[8:9]                      // 000000005BC8: DD348000 00082806
	global_atomic_add_f32 v6, v44, s[8:9] offset:256           // 000000005BD0: DD348100 00082C06
	s_mov_b64 exec, s[36:37]                                   // 000000005BD8: BEFE0124
	v_mov_b32_e32 v6, v35                                      // 000000005BDC: 7E0C0323
	s_mov_b64 s[60:61], 0                                      // 000000005BE0: BEBC0180
	v_readlane_b32 s82, v3, 2                                  // 000000005BE4: D2890052 00010503
	s_and_b32 s82, s82, 0xffffff                               // 000000005BEC: 8652FF52 00FFFFFF
	s_cmp_lt_u32 s82, s66                                      // 000000005BF4: BF0A4252
	s_cselect_b32 s20, s36, s60                                // 000000005BF8: 85143C24
	v_readlane_b32 s82, v3, 3                                  // 000000005BFC: D2890052 00010703
	s_and_b32 s82, s82, 0xffffff                               // 000000005C04: 8652FF52 00FFFFFF
	s_cmp_lt_u32 s82, s66                                      // 000000005C0C: BF0A4252
	s_cselect_b32 s21, s36, s60                                // 000000005C10: 85153C24
	s_mov_b64 exec, s[20:21]                                   // 000000005C14: BEFE0114
	global_atomic_add_f32 v6, v41, s[8:9]                      // 000000005C18: DD348000 00082906
	global_atomic_add_f32 v6, v45, s[8:9] offset:256           // 000000005C20: DD348100 00082D06
	s_mov_b64 exec, s[36:37]                                   // 000000005C28: BEFE0124
	ds_write_b64 v20, v[42:43]                                 // 000000005C2C: D89A0000 00002A14
	ds_write_b64 v20, v[46:47] offset:2176                     // 000000005C34: D89A0880 00002E14
	s_waitcnt lgkmcnt(0)                                       // 000000005C3C: BF8CC07F
	s_barrier                                                  // 000000005C40: BF8A0000
	ds_read_b32 v42, v21                                       // 000000005C44: D86C0000 2A000015
	ds_read_b32 v43, v21 offset:64                             // 000000005C4C: D86C0040 2B000015
	ds_read_b32 v46, v21 offset:2176                           // 000000005C54: D86C0880 2E000015
	ds_read_b32 v47, v21 offset:2240                           // 000000005C5C: D86C08C0 2F000015
	s_waitcnt lgkmcnt(0)                                       // 000000005C64: BF8CC07F
	v_mov_b32_e32 v7, 0                                        // 000000005C68: 7E0E0280
	s_mov_b64 exec, s[36:37]                                   // 000000005C6C: BEFE0124
	v_mov_b32_e32 v6, v34                                      // 000000005C70: 7E0C0322
	s_mov_b64 s[60:61], 0                                      // 000000005C74: BEBC0180
	v_readlane_b32 s82, v3, 0                                  // 000000005C78: D2890052 00010103
	s_and_b32 s82, s82, 0xffffff                               // 000000005C80: 8652FF52 00FFFFFF
	s_cmp_lt_u32 s82, s66                                      // 000000005C88: BF0A4252
	s_cselect_b32 s20, s36, s60                                // 000000005C8C: 85143C24
	v_readlane_b32 s82, v3, 1                                  // 000000005C90: D2890052 00010303
	s_and_b32 s82, s82, 0xffffff                               // 000000005C98: 8652FF52 00FFFFFF
	s_cmp_lt_u32 s82, s66                                      // 000000005CA0: BF0A4252
	s_cselect_b32 s21, s36, s60                                // 000000005CA4: 85153C24
	s_mov_b64 exec, s[20:21]                                   // 000000005CA8: BEFE0114
	global_atomic_add_f32 v6, v42, s[8:9] offset:8             // 000000005CAC: DD348008 00082A06
	global_atomic_add_f32 v6, v46, s[8:9] offset:264           // 000000005CB4: DD348108 00082E06
	s_mov_b64 exec, s[36:37]                                   // 000000005CBC: BEFE0124
	v_mov_b32_e32 v6, v35                                      // 000000005CC0: 7E0C0323
	s_mov_b64 s[60:61], 0                                      // 000000005CC4: BEBC0180
	v_readlane_b32 s82, v3, 2                                  // 000000005CC8: D2890052 00010503
	s_and_b32 s82, s82, 0xffffff                               // 000000005CD0: 8652FF52 00FFFFFF
	s_cmp_lt_u32 s82, s66                                      // 000000005CD8: BF0A4252
	s_cselect_b32 s20, s36, s60                                // 000000005CDC: 85143C24
	v_readlane_b32 s82, v3, 3                                  // 000000005CE0: D2890052 00010703
	s_and_b32 s82, s82, 0xffffff                               // 000000005CE8: 8652FF52 00FFFFFF
	s_cmp_lt_u32 s82, s66                                      // 000000005CF0: BF0A4252
	s_cselect_b32 s21, s36, s60                                // 000000005CF4: 85153C24
	s_mov_b64 exec, s[20:21]                                   // 000000005CF8: BEFE0114
	global_atomic_add_f32 v6, v43, s[8:9] offset:8             // 000000005CFC: DD348008 00082B06
	global_atomic_add_f32 v6, v47, s[8:9] offset:264           // 000000005D04: DD348108 00082F06
	s_mov_b64 exec, s[36:37]                                   // 000000005D0C: BEFE0124
	ds_write_b64 v20, v[48:49]                                 // 000000005D10: D89A0000 00003014
	ds_write_b64 v20, v[52:53] offset:2176                     // 000000005D18: D89A0880 00003414
	s_waitcnt lgkmcnt(0)                                       // 000000005D20: BF8CC07F
	s_barrier                                                  // 000000005D24: BF8A0000
	ds_read_b32 v48, v21                                       // 000000005D28: D86C0000 30000015
	ds_read_b32 v49, v21 offset:64                             // 000000005D30: D86C0040 31000015
	ds_read_b32 v52, v21 offset:2176                           // 000000005D38: D86C0880 34000015
	ds_read_b32 v53, v21 offset:2240                           // 000000005D40: D86C08C0 35000015
	s_mul_i32 s60, s65, 4                                      // 000000005D48: 923C8441
	s_add_u32 s8, s60, s8                                      // 000000005D4C: 8008083C
	s_addc_u32 s9, 0, s9                                       // 000000005D50: 82090980
	s_waitcnt lgkmcnt(0)                                       // 000000005D54: BF8CC07F
	v_mov_b32_e32 v7, 0                                        // 000000005D58: 7E0E0280
	s_mov_b64 exec, s[36:37]                                   // 000000005D5C: BEFE0124
	v_mov_b32_e32 v6, v34                                      // 000000005D60: 7E0C0322
	s_mov_b64 s[60:61], 0                                      // 000000005D64: BEBC0180
	v_readlane_b32 s82, v3, 0                                  // 000000005D68: D2890052 00010103
	s_and_b32 s82, s82, 0xffffff                               // 000000005D70: 8652FF52 00FFFFFF
	s_cmp_lt_u32 s82, s66                                      // 000000005D78: BF0A4252
	s_cselect_b32 s20, s36, s60                                // 000000005D7C: 85143C24
	v_readlane_b32 s82, v3, 1                                  // 000000005D80: D2890052 00010303
	s_and_b32 s82, s82, 0xffffff                               // 000000005D88: 8652FF52 00FFFFFF
	s_cmp_lt_u32 s82, s66                                      // 000000005D90: BF0A4252
	s_cselect_b32 s21, s36, s60                                // 000000005D94: 85153C24
	s_mov_b64 exec, s[20:21]                                   // 000000005D98: BEFE0114
	global_atomic_add_f32 v6, v48, s[8:9]                      // 000000005D9C: DD348000 00083006
	global_atomic_add_f32 v6, v52, s[8:9] offset:256           // 000000005DA4: DD348100 00083406
	s_mov_b64 exec, s[36:37]                                   // 000000005DAC: BEFE0124
	v_mov_b32_e32 v6, v35                                      // 000000005DB0: 7E0C0323
	s_mov_b64 s[60:61], 0                                      // 000000005DB4: BEBC0180
	v_readlane_b32 s82, v3, 2                                  // 000000005DB8: D2890052 00010503
	s_and_b32 s82, s82, 0xffffff                               // 000000005DC0: 8652FF52 00FFFFFF
	s_cmp_lt_u32 s82, s66                                      // 000000005DC8: BF0A4252
	s_cselect_b32 s20, s36, s60                                // 000000005DCC: 85143C24
	v_readlane_b32 s82, v3, 3                                  // 000000005DD0: D2890052 00010703
	s_and_b32 s82, s82, 0xffffff                               // 000000005DD8: 8652FF52 00FFFFFF
	s_cmp_lt_u32 s82, s66                                      // 000000005DE0: BF0A4252
	s_cselect_b32 s21, s36, s60                                // 000000005DE4: 85153C24
	s_mov_b64 exec, s[20:21]                                   // 000000005DE8: BEFE0114
	global_atomic_add_f32 v6, v49, s[8:9]                      // 000000005DEC: DD348000 00083106
	global_atomic_add_f32 v6, v53, s[8:9] offset:256           // 000000005DF4: DD348100 00083506
	s_mov_b64 exec, s[36:37]                                   // 000000005DFC: BEFE0124
	ds_write_b64 v20, v[50:51]                                 // 000000005E00: D89A0000 00003214
	ds_write_b64 v20, v[54:55] offset:2176                     // 000000005E08: D89A0880 00003614
	s_waitcnt lgkmcnt(0)                                       // 000000005E10: BF8CC07F
	s_barrier                                                  // 000000005E14: BF8A0000
	ds_read_b32 v50, v21                                       // 000000005E18: D86C0000 32000015
	ds_read_b32 v51, v21 offset:64                             // 000000005E20: D86C0040 33000015
	ds_read_b32 v54, v21 offset:2176                           // 000000005E28: D86C0880 36000015
	ds_read_b32 v55, v21 offset:2240                           // 000000005E30: D86C08C0 37000015
	s_waitcnt lgkmcnt(0)                                       // 000000005E38: BF8CC07F
	v_mov_b32_e32 v7, 0                                        // 000000005E3C: 7E0E0280
	s_mov_b64 exec, s[36:37]                                   // 000000005E40: BEFE0124
	v_mov_b32_e32 v6, v34                                      // 000000005E44: 7E0C0322
	s_mov_b64 s[60:61], 0                                      // 000000005E48: BEBC0180
	v_readlane_b32 s82, v3, 0                                  // 000000005E4C: D2890052 00010103
	s_and_b32 s82, s82, 0xffffff                               // 000000005E54: 8652FF52 00FFFFFF
	s_cmp_lt_u32 s82, s66                                      // 000000005E5C: BF0A4252
	s_cselect_b32 s20, s36, s60                                // 000000005E60: 85143C24
	v_readlane_b32 s82, v3, 1                                  // 000000005E64: D2890052 00010303
	s_and_b32 s82, s82, 0xffffff                               // 000000005E6C: 8652FF52 00FFFFFF
	s_cmp_lt_u32 s82, s66                                      // 000000005E74: BF0A4252
	s_cselect_b32 s21, s36, s60                                // 000000005E78: 85153C24
	s_mov_b64 exec, s[20:21]                                   // 000000005E7C: BEFE0114
	global_atomic_add_f32 v6, v50, s[8:9] offset:8             // 000000005E80: DD348008 00083206
	global_atomic_add_f32 v6, v54, s[8:9] offset:264           // 000000005E88: DD348108 00083606
	s_mov_b64 exec, s[36:37]                                   // 000000005E90: BEFE0124
	v_mov_b32_e32 v6, v35                                      // 000000005E94: 7E0C0323
	s_mov_b64 s[60:61], 0                                      // 000000005E98: BEBC0180
	v_readlane_b32 s82, v3, 2                                  // 000000005E9C: D2890052 00010503
	s_and_b32 s82, s82, 0xffffff                               // 000000005EA4: 8652FF52 00FFFFFF
	s_cmp_lt_u32 s82, s66                                      // 000000005EAC: BF0A4252
	s_cselect_b32 s20, s36, s60                                // 000000005EB0: 85143C24
	v_readlane_b32 s82, v3, 3                                  // 000000005EB4: D2890052 00010703
	s_and_b32 s82, s82, 0xffffff                               // 000000005EBC: 8652FF52 00FFFFFF
	s_cmp_lt_u32 s82, s66                                      // 000000005EC4: BF0A4252
	s_cselect_b32 s21, s36, s60                                // 000000005EC8: 85153C24
	s_mov_b64 exec, s[20:21]                                   // 000000005ECC: BEFE0114
	global_atomic_add_f32 v6, v51, s[8:9] offset:8             // 000000005ED0: DD348008 00083306
	global_atomic_add_f32 v6, v55, s[8:9] offset:264           // 000000005ED8: DD348108 00083706
	s_mov_b64 exec, s[36:37]                                   // 000000005EE0: BEFE0124
	s_branch label_0D3D                                        // 000000005EE4: BF820000

0000000000005ee8 <label_0D3D>:
	s_waitcnt vmcnt(0) expcnt(0) lgkmcnt(0)                    // 000000005EE8: BF8C0000
	s_endpgm                                                   // 000000005EEC: BF810000
